;; amdgpu-corpus repo=ROCm/rocFFT kind=compiled arch=gfx950 opt=O3
	.text
	.amdgcn_target "amdgcn-amd-amdhsa--gfx950"
	.amdhsa_code_object_version 6
	.protected	fft_rtc_back_len1872_factors_13_3_4_6_2_wgs_156_tpt_156_halfLds_sp_op_CI_CI_unitstride_sbrr_C2R_dirReg ; -- Begin function fft_rtc_back_len1872_factors_13_3_4_6_2_wgs_156_tpt_156_halfLds_sp_op_CI_CI_unitstride_sbrr_C2R_dirReg
	.globl	fft_rtc_back_len1872_factors_13_3_4_6_2_wgs_156_tpt_156_halfLds_sp_op_CI_CI_unitstride_sbrr_C2R_dirReg
	.p2align	8
	.type	fft_rtc_back_len1872_factors_13_3_4_6_2_wgs_156_tpt_156_halfLds_sp_op_CI_CI_unitstride_sbrr_C2R_dirReg,@function
fft_rtc_back_len1872_factors_13_3_4_6_2_wgs_156_tpt_156_halfLds_sp_op_CI_CI_unitstride_sbrr_C2R_dirReg: ; @fft_rtc_back_len1872_factors_13_3_4_6_2_wgs_156_tpt_156_halfLds_sp_op_CI_CI_unitstride_sbrr_C2R_dirReg
; %bb.0:
	s_load_dwordx4 s[4:7], s[0:1], 0x58
	s_load_dwordx4 s[8:11], s[0:1], 0x0
	;; [unrolled: 1-line block ×3, first 2 shown]
	v_mul_u32_u24_e32 v1, 0x1a5, v0
	v_add_u32_sdwa v6, s2, v1 dst_sel:DWORD dst_unused:UNUSED_PAD src0_sel:DWORD src1_sel:WORD_1
	v_mov_b32_e32 v4, 0
	s_waitcnt lgkmcnt(0)
	v_cmp_lt_u64_e64 s[2:3], s[10:11], 2
	v_mov_b32_e32 v7, v4
	s_and_b64 vcc, exec, s[2:3]
	v_mov_b64_e32 v[2:3], 0
	s_cbranch_vccnz .LBB0_8
; %bb.1:
	s_load_dwordx2 s[2:3], s[0:1], 0x10
	s_add_u32 s16, s14, 8
	s_addc_u32 s17, s15, 0
	s_add_u32 s18, s12, 8
	s_addc_u32 s19, s13, 0
	s_waitcnt lgkmcnt(0)
	s_add_u32 s20, s2, 8
	v_mov_b64_e32 v[2:3], 0
	s_addc_u32 s21, s3, 0
	s_mov_b64 s[22:23], 1
	v_mov_b64_e32 v[24:25], v[2:3]
.LBB0_2:                                ; =>This Inner Loop Header: Depth=1
	s_load_dwordx2 s[24:25], s[20:21], 0x0
                                        ; implicit-def: $vgpr26_vgpr27
	s_waitcnt lgkmcnt(0)
	v_or_b32_e32 v5, s25, v7
	v_cmp_ne_u64_e32 vcc, 0, v[4:5]
	s_and_saveexec_b64 s[2:3], vcc
	s_xor_b64 s[26:27], exec, s[2:3]
	s_cbranch_execz .LBB0_4
; %bb.3:                                ;   in Loop: Header=BB0_2 Depth=1
	v_cvt_f32_u32_e32 v1, s24
	v_cvt_f32_u32_e32 v5, s25
	s_sub_u32 s2, 0, s24
	s_subb_u32 s3, 0, s25
	v_fmac_f32_e32 v1, 0x4f800000, v5
	v_rcp_f32_e32 v1, v1
	s_nop 0
	v_mul_f32_e32 v1, 0x5f7ffffc, v1
	v_mul_f32_e32 v5, 0x2f800000, v1
	v_trunc_f32_e32 v5, v5
	v_fmac_f32_e32 v1, 0xcf800000, v5
	v_cvt_u32_f32_e32 v5, v5
	v_cvt_u32_f32_e32 v1, v1
	v_mul_lo_u32 v8, s2, v5
	v_mul_hi_u32 v10, s2, v1
	v_mul_lo_u32 v9, s3, v1
	v_add_u32_e32 v10, v10, v8
	v_mul_lo_u32 v12, s2, v1
	v_add_u32_e32 v13, v10, v9
	v_mul_hi_u32 v8, v1, v12
	v_mul_hi_u32 v11, v1, v13
	v_mul_lo_u32 v10, v1, v13
	v_mov_b32_e32 v9, v4
	v_lshl_add_u64 v[8:9], v[8:9], 0, v[10:11]
	v_mul_hi_u32 v11, v5, v12
	v_mul_lo_u32 v12, v5, v12
	v_add_co_u32_e32 v8, vcc, v8, v12
	v_mul_hi_u32 v10, v5, v13
	s_nop 0
	v_addc_co_u32_e32 v8, vcc, v9, v11, vcc
	v_mov_b32_e32 v9, v4
	s_nop 0
	v_addc_co_u32_e32 v11, vcc, 0, v10, vcc
	v_mul_lo_u32 v10, v5, v13
	v_lshl_add_u64 v[8:9], v[8:9], 0, v[10:11]
	v_add_co_u32_e32 v1, vcc, v1, v8
	v_mul_lo_u32 v10, s2, v1
	s_nop 0
	v_addc_co_u32_e32 v5, vcc, v5, v9, vcc
	v_mul_lo_u32 v8, s2, v5
	v_mul_hi_u32 v9, s2, v1
	v_add_u32_e32 v8, v9, v8
	v_mul_lo_u32 v9, s3, v1
	v_add_u32_e32 v12, v8, v9
	v_mul_hi_u32 v14, v5, v10
	v_mul_lo_u32 v15, v5, v10
	v_mul_hi_u32 v9, v1, v12
	v_mul_lo_u32 v8, v1, v12
	v_mul_hi_u32 v10, v1, v10
	v_mov_b32_e32 v11, v4
	v_lshl_add_u64 v[8:9], v[10:11], 0, v[8:9]
	v_add_co_u32_e32 v8, vcc, v8, v15
	v_mul_hi_u32 v13, v5, v12
	s_nop 0
	v_addc_co_u32_e32 v8, vcc, v9, v14, vcc
	v_mul_lo_u32 v10, v5, v12
	s_nop 0
	v_addc_co_u32_e32 v11, vcc, 0, v13, vcc
	v_mov_b32_e32 v9, v4
	v_lshl_add_u64 v[8:9], v[8:9], 0, v[10:11]
	v_add_co_u32_e32 v1, vcc, v1, v8
	v_mul_hi_u32 v10, v6, v1
	s_nop 0
	v_addc_co_u32_e32 v5, vcc, v5, v9, vcc
	v_mad_u64_u32 v[8:9], s[2:3], v6, v5, 0
	v_mov_b32_e32 v11, v4
	v_lshl_add_u64 v[8:9], v[10:11], 0, v[8:9]
	v_mad_u64_u32 v[12:13], s[2:3], v7, v1, 0
	v_add_co_u32_e32 v1, vcc, v8, v12
	v_mad_u64_u32 v[10:11], s[2:3], v7, v5, 0
	s_nop 0
	v_addc_co_u32_e32 v8, vcc, v9, v13, vcc
	v_mov_b32_e32 v9, v4
	s_nop 0
	v_addc_co_u32_e32 v11, vcc, 0, v11, vcc
	v_lshl_add_u64 v[8:9], v[8:9], 0, v[10:11]
	v_mul_lo_u32 v1, s25, v8
	v_mul_lo_u32 v5, s24, v9
	v_mad_u64_u32 v[10:11], s[2:3], s24, v8, 0
	v_add3_u32 v1, v11, v5, v1
	v_sub_u32_e32 v5, v7, v1
	v_mov_b32_e32 v11, s25
	v_sub_co_u32_e32 v14, vcc, v6, v10
	v_lshl_add_u64 v[12:13], v[8:9], 0, 1
	s_nop 0
	v_subb_co_u32_e64 v5, s[2:3], v5, v11, vcc
	v_subrev_co_u32_e64 v10, s[2:3], s24, v14
	v_subb_co_u32_e32 v1, vcc, v7, v1, vcc
	s_nop 0
	v_subbrev_co_u32_e64 v5, s[2:3], 0, v5, s[2:3]
	v_cmp_le_u32_e64 s[2:3], s25, v5
	v_cmp_le_u32_e32 vcc, s25, v1
	s_nop 0
	v_cndmask_b32_e64 v11, 0, -1, s[2:3]
	v_cmp_le_u32_e64 s[2:3], s24, v10
	s_nop 1
	v_cndmask_b32_e64 v10, 0, -1, s[2:3]
	v_cmp_eq_u32_e64 s[2:3], s25, v5
	s_nop 1
	v_cndmask_b32_e64 v5, v11, v10, s[2:3]
	v_lshl_add_u64 v[10:11], v[8:9], 0, 2
	v_cmp_ne_u32_e64 s[2:3], 0, v5
	s_nop 1
	v_cndmask_b32_e64 v5, v13, v11, s[2:3]
	v_cndmask_b32_e64 v11, 0, -1, vcc
	v_cmp_le_u32_e32 vcc, s24, v14
	s_nop 1
	v_cndmask_b32_e64 v13, 0, -1, vcc
	v_cmp_eq_u32_e32 vcc, s25, v1
	s_nop 1
	v_cndmask_b32_e32 v1, v11, v13, vcc
	v_cmp_ne_u32_e32 vcc, 0, v1
	v_cndmask_b32_e64 v1, v12, v10, s[2:3]
	s_nop 0
	v_cndmask_b32_e32 v27, v9, v5, vcc
	v_cndmask_b32_e32 v26, v8, v1, vcc
.LBB0_4:                                ;   in Loop: Header=BB0_2 Depth=1
	s_andn2_saveexec_b64 s[2:3], s[26:27]
	s_cbranch_execz .LBB0_6
; %bb.5:                                ;   in Loop: Header=BB0_2 Depth=1
	v_cvt_f32_u32_e32 v1, s24
	s_sub_i32 s26, 0, s24
	v_mov_b32_e32 v27, v4
	v_rcp_iflag_f32_e32 v1, v1
	s_nop 0
	v_mul_f32_e32 v1, 0x4f7ffffe, v1
	v_cvt_u32_f32_e32 v1, v1
	v_mul_lo_u32 v5, s26, v1
	v_mul_hi_u32 v5, v1, v5
	v_add_u32_e32 v1, v1, v5
	v_mul_hi_u32 v1, v6, v1
	v_mul_lo_u32 v5, v1, s24
	v_sub_u32_e32 v5, v6, v5
	v_add_u32_e32 v8, 1, v1
	v_subrev_u32_e32 v9, s24, v5
	v_cmp_le_u32_e32 vcc, s24, v5
	s_nop 1
	v_cndmask_b32_e32 v5, v5, v9, vcc
	v_cndmask_b32_e32 v1, v1, v8, vcc
	v_add_u32_e32 v8, 1, v1
	v_cmp_le_u32_e32 vcc, s24, v5
	s_nop 1
	v_cndmask_b32_e32 v26, v1, v8, vcc
.LBB0_6:                                ;   in Loop: Header=BB0_2 Depth=1
	s_or_b64 exec, exec, s[2:3]
	v_mad_u64_u32 v[8:9], s[2:3], v26, s24, 0
	s_load_dwordx2 s[2:3], s[18:19], 0x0
	v_mul_lo_u32 v1, v27, s24
	v_mul_lo_u32 v5, v26, s25
	s_load_dwordx2 s[24:25], s[16:17], 0x0
	s_add_u32 s22, s22, 1
	v_add3_u32 v1, v9, v5, v1
	v_sub_co_u32_e32 v5, vcc, v6, v8
	s_addc_u32 s23, s23, 0
	s_nop 0
	v_subb_co_u32_e32 v1, vcc, v7, v1, vcc
	s_add_u32 s16, s16, 8
	s_waitcnt lgkmcnt(0)
	v_mul_lo_u32 v6, s2, v1
	v_mul_lo_u32 v7, s3, v5
	v_mad_u64_u32 v[2:3], s[2:3], s2, v5, v[2:3]
	s_addc_u32 s17, s17, 0
	v_add3_u32 v3, v7, v3, v6
	v_mul_lo_u32 v1, s24, v1
	v_mul_lo_u32 v6, s25, v5
	v_mad_u64_u32 v[24:25], s[2:3], s24, v5, v[24:25]
	s_add_u32 s18, s18, 8
	v_add3_u32 v25, v6, v25, v1
	s_addc_u32 s19, s19, 0
	v_mov_b64_e32 v[6:7], s[10:11]
	s_add_u32 s20, s20, 8
	v_cmp_ge_u64_e32 vcc, s[22:23], v[6:7]
	s_addc_u32 s21, s21, 0
	s_cbranch_vccnz .LBB0_9
; %bb.7:                                ;   in Loop: Header=BB0_2 Depth=1
	v_mov_b64_e32 v[6:7], v[26:27]
	s_branch .LBB0_2
.LBB0_8:
	v_mov_b64_e32 v[24:25], v[2:3]
	v_mov_b64_e32 v[26:27], v[6:7]
.LBB0_9:
	s_load_dwordx2 s[18:19], s[0:1], 0x28
	s_lshl_b64 s[16:17], s[10:11], 3
	s_add_u32 s2, s14, s16
	s_addc_u32 s3, s15, s17
                                        ; implicit-def: $vgpr28
                                        ; implicit-def: $vgpr30_vgpr31
	s_waitcnt lgkmcnt(0)
	v_cmp_gt_u64_e64 s[0:1], s[18:19], v[26:27]
	v_cmp_le_u64_e32 vcc, s[18:19], v[26:27]
	s_and_saveexec_b64 s[10:11], vcc
	s_xor_b64 s[10:11], exec, s[10:11]
; %bb.10:
	s_mov_b32 s14, 0x1a41a42
	v_mul_hi_u32 v1, v0, s14
	v_mul_u32_u24_e32 v1, 0x9c, v1
	v_sub_u32_e32 v28, v0, v1
	v_mov_b32_e32 v29, 0
	v_mov_b64_e32 v[30:31], v[28:29]
                                        ; implicit-def: $vgpr0
                                        ; implicit-def: $vgpr2_vgpr3
; %bb.11:
	s_or_saveexec_b64 s[10:11], s[10:11]
	s_load_dwordx2 s[2:3], s[2:3], 0x0
	s_xor_b64 exec, exec, s[10:11]
	s_cbranch_execz .LBB0_15
; %bb.12:
	s_add_u32 s12, s12, s16
	s_addc_u32 s13, s13, s17
	s_load_dwordx2 s[12:13], s[12:13], 0x0
	s_mov_b32 s14, 0x1a41a42
	v_mov_b32_e32 v29, 0
	s_waitcnt lgkmcnt(0)
	v_mul_lo_u32 v1, s13, v26
	v_mul_lo_u32 v6, s12, v27
	v_mad_u64_u32 v[4:5], s[12:13], s12, v26, 0
	v_add3_u32 v5, v5, v6, v1
	v_mul_hi_u32 v1, v0, s14
	v_mul_u32_u24_e32 v1, 0x9c, v1
	v_sub_u32_e32 v28, v0, v1
	v_lshl_add_u64 v[0:1], v[4:5], 3, s[4:5]
	v_lshl_add_u64 v[0:1], v[2:3], 3, v[0:1]
	v_lshlrev_b32_e32 v2, 3, v28
	v_mov_b32_e32 v3, v29
	v_lshl_add_u64 v[4:5], v[0:1], 0, v[2:3]
	s_movk_i32 s4, 0x1000
	v_add_co_u32_e32 v14, vcc, s4, v4
	s_movk_i32 s4, 0x2000
	s_nop 0
	v_addc_co_u32_e32 v15, vcc, 0, v5, vcc
	v_add_co_u32_e32 v16, vcc, s4, v4
	global_load_dwordx2 v[6:7], v[4:5], off
	global_load_dwordx2 v[8:9], v[4:5], off offset:1248
	global_load_dwordx2 v[10:11], v[4:5], off offset:2496
	;; [unrolled: 1-line block ×3, first 2 shown]
	v_addc_co_u32_e32 v17, vcc, 0, v5, vcc
	v_add_co_u32_e32 v4, vcc, 0x3000, v4
	global_load_dwordx2 v[18:19], v[14:15], off offset:896
	global_load_dwordx2 v[20:21], v[14:15], off offset:2144
	global_load_dwordx2 v[22:23], v[14:15], off offset:3392
	global_load_dwordx2 v[30:31], v[16:17], off offset:544
	v_addc_co_u32_e32 v5, vcc, 0, v5, vcc
	global_load_dwordx2 v[14:15], v[16:17], off offset:1792
	global_load_dwordx2 v[32:33], v[16:17], off offset:3040
	;; [unrolled: 1-line block ×4, first 2 shown]
	s_movk_i32 s4, 0x9b
	v_add_u32_e32 v2, 0, v2
	v_cmp_eq_u32_e32 vcc, s4, v28
	v_add_u32_e32 v3, 0x800, v2
	v_add_u32_e32 v4, 0x1200, v2
	;; [unrolled: 1-line block ×5, first 2 shown]
	s_waitcnt vmcnt(10)
	ds_write2_b64 v2, v[6:7], v[8:9] offset1:156
	s_waitcnt vmcnt(8)
	ds_write2_b64 v3, v[10:11], v[12:13] offset0:56 offset1:212
	s_waitcnt vmcnt(6)
	ds_write2_b64 v4, v[18:19], v[20:21] offset0:48 offset1:204
	;; [unrolled: 2-line block ×5, first 2 shown]
	v_mov_b64_e32 v[30:31], v[28:29]
	s_and_saveexec_b64 s[4:5], vcc
	s_cbranch_execz .LBB0_14
; %bb.13:
	v_add_co_u32_e32 v0, vcc, 0x3000, v0
	v_mov_b32_e32 v28, 0x9b
	s_nop 0
	v_addc_co_u32_e32 v1, vcc, 0, v1, vcc
	global_load_dwordx2 v[0:1], v[0:1], off offset:2688
	v_mov_b64_e32 v[30:31], 0x9b
	s_waitcnt vmcnt(0)
	ds_write_b64 v29, v[0:1] offset:14976
.LBB0_14:
	s_or_b64 exec, exec, s[4:5]
.LBB0_15:
	s_or_b64 exec, exec, s[10:11]
	v_lshlrev_b32_e32 v0, 3, v28
	v_add_u32_e32 v88, 0, v0
	s_waitcnt lgkmcnt(0)
	s_barrier
	v_sub_u32_e32 v2, 0, v0
	ds_read_b32 v1, v88
	ds_read_b32 v3, v2 offset:14976
	s_add_u32 s4, s8, 0x3a18
	s_addc_u32 s5, s9, 0
	v_cmp_ne_u32_e32 vcc, 0, v28
	s_waitcnt lgkmcnt(0)
	v_add_f32_e32 v0, v3, v1
	v_sub_f32_e32 v1, v1, v3
	s_and_saveexec_b64 s[10:11], vcc
	s_xor_b64 s[10:11], exec, s[10:11]
	s_cbranch_execz .LBB0_17
; %bb.16:
	v_lshl_add_u64 v[4:5], v[30:31], 3, s[4:5]
	global_load_dwordx2 v[4:5], v[4:5], off
	ds_read_b32 v3, v2 offset:14980
	ds_read_b32 v9, v88 offset:4
	v_mov_b32_e32 v6, v1
	v_mov_b32_e32 v8, v0
	;; [unrolled: 1-line block ×3, first 2 shown]
	s_waitcnt lgkmcnt(0)
	v_add_f32_e32 v7, v3, v9
	v_sub_f32_e32 v9, v9, v3
	v_mov_b32_e32 v10, v7
	s_waitcnt vmcnt(0)
	v_pk_mul_f32 v[12:13], v[6:7], v[4:5] op_sel:[0,1]
	v_pk_fma_f32 v[6:7], v[6:7], v[4:5], v[8:9] op_sel:[0,1,0]
	v_mov_b32_e32 v1, v13
	v_mov_b32_e32 v13, v9
	v_pk_fma_f32 v[14:15], v[4:5], v[10:11], v[6:7] neg_lo:[1,0,0] neg_hi:[1,0,0]
	v_pk_fma_f32 v[6:7], v[4:5], v[10:11], v[6:7] op_sel_hi:[0,1,1]
	v_pk_add_f32 v[0:1], v[0:1], v[12:13] neg_lo:[0,1] neg_hi:[0,1]
	v_mov_b32_e32 v15, v7
	v_pk_fma_f32 v[0:1], v[4:5], v[10:11], v[0:1] op_sel_hi:[0,1,1]
	ds_write_b64 v2, v[0:1] offset:14976
	v_mov_b64_e32 v[0:1], v[14:15]
.LBB0_17:
	s_andn2_saveexec_b64 s[10:11], s[10:11]
	s_cbranch_execz .LBB0_19
; %bb.18:
	v_mov_b32_e32 v3, 0
	ds_read_b64 v[4:5], v3 offset:7488
	s_mov_b32 s12, 2.0
	s_mov_b32 s13, -2.0
	s_waitcnt lgkmcnt(0)
	v_pk_mul_f32 v[4:5], v[4:5], s[12:13]
	ds_write_b64 v3, v[4:5] offset:7488
.LBB0_19:
	s_or_b64 exec, exec, s[10:11]
	v_mov_b32_e32 v29, 0
	v_lshl_add_u64 v[4:5], v[28:29], 3, s[4:5]
	global_load_dwordx2 v[6:7], v[4:5], off offset:1248
	v_add_u32_e32 v34, 0x138, v28
	v_mov_b32_e32 v35, v29
	v_lshl_add_u64 v[8:9], v[34:35], 3, s[4:5]
	global_load_dwordx2 v[8:9], v[8:9], off
	v_add_u32_e32 v32, 0x1d4, v28
	v_mov_b32_e32 v33, v29
	v_lshl_add_u64 v[10:11], v[32:33], 3, s[4:5]
	global_load_dwordx2 v[10:11], v[10:11], off
	s_movk_i32 s13, 0x1000
	v_add_co_u32_e32 v4, vcc, s13, v4
	ds_write_b64 v88, v[0:1]
	s_nop 0
	v_addc_co_u32_e32 v5, vcc, 0, v5, vcc
	global_load_dwordx2 v[12:13], v[4:5], off offset:896
	ds_read_b64 v[0:1], v2 offset:13728
	ds_read_b64 v[14:15], v88 offset:1248
	global_load_dwordx2 v[4:5], v[4:5], off offset:2144
	v_lshl_add_u32 v89, v34, 3, 0
	v_lshl_add_u32 v90, v32, 3, 0
	v_add_u32_e32 v92, 0x800, v88
	s_waitcnt lgkmcnt(0)
	v_pk_add_f32 v[16:17], v[14:15], v[0:1]
	v_pk_add_f32 v[0:1], v[14:15], v[0:1] neg_lo:[0,1] neg_hi:[0,1]
	v_mov_b32_e32 v14, v17
	v_mov_b32_e32 v15, v0
	;; [unrolled: 1-line block ×3, first 2 shown]
	v_add_u32_e32 v93, 0x1800, v88
	v_add_u32_e32 v91, 0x2400, v88
	s_movk_i32 s4, 0x90
	s_movk_i32 s11, 0x138
	v_cmp_gt_u32_e32 vcc, s4, v28
	s_waitcnt vmcnt(4)
	v_pk_mul_f32 v[18:19], v[14:15], v[6:7] op_sel:[0,1]
	s_nop 0
	v_pk_add_f32 v[20:21], v[16:17], v[18:19] op_sel:[0,1] op_sel_hi:[1,0]
	v_mov_b32_e32 v17, v18
	v_mov_b32_e32 v0, v19
	v_pk_fma_f32 v[18:19], v[6:7], v[14:15], v[20:21] neg_lo:[1,0,0] neg_hi:[1,0,0]
	v_pk_fma_f32 v[20:21], v[6:7], v[14:15], v[20:21] op_sel_hi:[0,1,1]
	v_pk_add_f32 v[0:1], v[16:17], v[0:1] neg_lo:[0,1] neg_hi:[0,1]
	v_mov_b32_e32 v19, v21
	v_pk_fma_f32 v[0:1], v[6:7], v[14:15], v[0:1] op_sel_hi:[0,1,1]
	ds_write_b64 v88, v[18:19] offset:1248
	ds_write_b64 v2, v[0:1] offset:13728
	ds_read_b64 v[0:1], v2 offset:12480
	ds_read_b64 v[6:7], v89
	v_add_u32_e32 v20, 0x2c00, v88
	s_waitcnt lgkmcnt(0)
	v_pk_add_f32 v[14:15], v[6:7], v[0:1]
	v_pk_add_f32 v[0:1], v[6:7], v[0:1] neg_lo:[0,1] neg_hi:[0,1]
	v_mov_b32_e32 v6, v15
	v_mov_b32_e32 v7, v0
	v_mov_b32_e32 v15, v1
	s_waitcnt vmcnt(3)
	v_pk_mul_f32 v[16:17], v[6:7], v[8:9] op_sel:[0,1]
	s_nop 0
	v_pk_add_f32 v[18:19], v[14:15], v[16:17] op_sel:[0,1] op_sel_hi:[1,0]
	v_mov_b32_e32 v15, v16
	v_mov_b32_e32 v0, v17
	v_pk_fma_f32 v[16:17], v[8:9], v[6:7], v[18:19] neg_lo:[1,0,0] neg_hi:[1,0,0]
	v_pk_fma_f32 v[18:19], v[8:9], v[6:7], v[18:19] op_sel_hi:[0,1,1]
	v_pk_add_f32 v[0:1], v[14:15], v[0:1] neg_lo:[0,1] neg_hi:[0,1]
	v_mov_b32_e32 v17, v19
	v_pk_fma_f32 v[0:1], v[8:9], v[6:7], v[0:1] op_sel_hi:[0,1,1]
	ds_write_b64 v89, v[16:17]
	ds_write_b64 v2, v[0:1] offset:12480
	ds_read_b64 v[0:1], v2 offset:11232
	ds_read_b64 v[6:7], v90
	s_waitcnt lgkmcnt(0)
	v_pk_add_f32 v[8:9], v[6:7], v[0:1]
	v_pk_add_f32 v[0:1], v[6:7], v[0:1] neg_lo:[0,1] neg_hi:[0,1]
	v_mov_b32_e32 v6, v9
	v_mov_b32_e32 v7, v0
	;; [unrolled: 1-line block ×3, first 2 shown]
	s_waitcnt vmcnt(2)
	v_pk_mul_f32 v[14:15], v[6:7], v[10:11] op_sel:[0,1]
	s_nop 0
	v_pk_add_f32 v[16:17], v[8:9], v[14:15] op_sel:[0,1] op_sel_hi:[1,0]
	v_mov_b32_e32 v9, v14
	v_mov_b32_e32 v0, v15
	v_pk_fma_f32 v[14:15], v[10:11], v[6:7], v[16:17] neg_lo:[1,0,0] neg_hi:[1,0,0]
	v_pk_fma_f32 v[16:17], v[10:11], v[6:7], v[16:17] op_sel_hi:[0,1,1]
	v_pk_add_f32 v[0:1], v[8:9], v[0:1] neg_lo:[0,1] neg_hi:[0,1]
	v_mov_b32_e32 v15, v17
	v_pk_fma_f32 v[0:1], v[10:11], v[6:7], v[0:1] op_sel_hi:[0,1,1]
	ds_write_b64 v90, v[14:15]
	ds_write_b64 v2, v[0:1] offset:11232
	ds_read_b64 v[0:1], v2 offset:9984
	ds_read_b64 v[6:7], v88 offset:4992
	s_waitcnt lgkmcnt(0)
	v_pk_add_f32 v[8:9], v[6:7], v[0:1]
	v_pk_add_f32 v[0:1], v[6:7], v[0:1] neg_lo:[0,1] neg_hi:[0,1]
	v_mov_b32_e32 v6, v9
	v_mov_b32_e32 v7, v0
	;; [unrolled: 1-line block ×3, first 2 shown]
	s_waitcnt vmcnt(1)
	v_pk_mul_f32 v[10:11], v[6:7], v[12:13] op_sel:[0,1]
	s_nop 0
	v_pk_add_f32 v[14:15], v[8:9], v[10:11] op_sel:[0,1] op_sel_hi:[1,0]
	v_mov_b32_e32 v9, v10
	v_mov_b32_e32 v0, v11
	v_pk_fma_f32 v[10:11], v[12:13], v[6:7], v[14:15] neg_lo:[1,0,0] neg_hi:[1,0,0]
	v_pk_fma_f32 v[14:15], v[12:13], v[6:7], v[14:15] op_sel_hi:[0,1,1]
	v_pk_add_f32 v[0:1], v[8:9], v[0:1] neg_lo:[0,1] neg_hi:[0,1]
	v_mov_b32_e32 v11, v15
	v_pk_fma_f32 v[0:1], v[12:13], v[6:7], v[0:1] op_sel_hi:[0,1,1]
	ds_write_b64 v88, v[10:11] offset:4992
	ds_write_b64 v2, v[0:1] offset:9984
	ds_read_b64 v[0:1], v2 offset:8736
	ds_read_b64 v[6:7], v88 offset:6240
	v_add_u32_e32 v14, 0x1000, v88
	s_waitcnt lgkmcnt(0)
	v_pk_add_f32 v[8:9], v[6:7], v[0:1]
	v_pk_add_f32 v[0:1], v[6:7], v[0:1] neg_lo:[0,1] neg_hi:[0,1]
	v_mov_b32_e32 v6, v9
	v_mov_b32_e32 v7, v0
	v_mov_b32_e32 v9, v1
	s_waitcnt vmcnt(0)
	v_pk_mul_f32 v[10:11], v[6:7], v[4:5] op_sel:[0,1]
	s_nop 0
	v_pk_add_f32 v[12:13], v[8:9], v[10:11] op_sel:[0,1] op_sel_hi:[1,0]
	v_mov_b32_e32 v9, v10
	v_mov_b32_e32 v0, v11
	v_pk_fma_f32 v[10:11], v[4:5], v[6:7], v[12:13] neg_lo:[1,0,0] neg_hi:[1,0,0]
	v_pk_fma_f32 v[12:13], v[4:5], v[6:7], v[12:13] op_sel_hi:[0,1,1]
	v_pk_add_f32 v[0:1], v[8:9], v[0:1] neg_lo:[0,1] neg_hi:[0,1]
	v_mov_b32_e32 v11, v13
	v_pk_fma_f32 v[0:1], v[4:5], v[6:7], v[0:1] op_sel_hi:[0,1,1]
	ds_write_b64 v88, v[10:11] offset:6240
	ds_write_b64 v2, v[0:1] offset:8736
	s_waitcnt lgkmcnt(0)
	s_barrier
	s_barrier
	ds_read2_b64 v[0:3], v88 offset1:144
	ds_read2_b64 v[16:19], v92 offset0:32 offset1:176
	ds_read2_b64 v[8:11], v14 offset0:64 offset1:208
	;; [unrolled: 1-line block ×3, first 2 shown]
	ds_read2_b64 v[12:15], v91 offset1:144
	ds_read2_b64 v[20:23], v20 offset0:32 offset1:176
	ds_read_b64 v[36:37], v88 offset:13824
	s_waitcnt lgkmcnt(0)
	s_barrier
	s_and_saveexec_b64 s[4:5], vcc
	s_cbranch_execz .LBB0_21
; %bb.20:
	v_pk_add_f32 v[38:39], v[0:1], v[2:3]
	v_pk_add_f32 v[84:85], v[2:3], v[36:37] neg_lo:[0,1] neg_hi:[0,1]
	v_pk_add_f32 v[38:39], v[38:39], v[16:17]
	s_mov_b32 s10, 0xbeedf032
	v_pk_add_f32 v[38:39], v[38:39], v[18:19]
	v_pk_add_f32 v[82:83], v[36:37], v[2:3]
	;; [unrolled: 1-line block ×3, first 2 shown]
	v_pk_add_f32 v[64:65], v[4:5], v[6:7] neg_lo:[0,1] neg_hi:[0,1]
	v_pk_add_f32 v[38:39], v[38:39], v[10:11]
	v_pk_add_f32 v[62:63], v[6:7], v[4:5]
	;; [unrolled: 1-line block ×3, first 2 shown]
	s_mov_b32 s14, 0x3f62ad3f
	v_pk_mul_f32 v[4:5], v[84:85], s[10:11] op_sel_hi:[1,0]
	v_pk_add_f32 v[80:81], v[16:17], v[22:23] neg_lo:[0,1] neg_hi:[0,1]
	v_pk_fma_f32 v[2:3], v[82:83], s[14:15], v[4:5] op_sel:[0,0,1] op_sel_hi:[1,0,0]
	v_pk_fma_f32 v[4:5], v[82:83], s[14:15], v[4:5] op_sel:[0,0,1] op_sel_hi:[1,0,0] neg_lo:[0,0,1] neg_hi:[0,0,1]
	s_mov_b32 s24, 0xbf52af12
	v_pk_add_f32 v[38:39], v[38:39], v[6:7]
	v_pk_add_f32 v[78:79], v[22:23], v[16:17]
	v_pk_add_f32 v[72:73], v[8:9], v[14:15] neg_lo:[0,1] neg_hi:[0,1]
	v_pk_add_f32 v[70:71], v[14:15], v[8:9]
	v_mov_b32_e32 v6, v2
	v_mov_b32_e32 v7, v5
	s_mov_b32 s12, 0x3f116cb1
	v_pk_mul_f32 v[8:9], v[80:81], s[24:25] op_sel_hi:[1,0]
	v_pk_add_f32 v[68:69], v[10:11], v[12:13] neg_lo:[0,1] neg_hi:[0,1]
	v_pk_add_f32 v[66:67], v[12:13], v[10:11]
	v_pk_add_f32 v[10:11], v[0:1], v[6:7]
	v_pk_fma_f32 v[6:7], v[78:79], s[12:13], v[8:9] op_sel:[0,0,1] op_sel_hi:[1,0,0]
	v_pk_fma_f32 v[8:9], v[78:79], s[12:13], v[8:9] op_sel:[0,0,1] op_sel_hi:[1,0,0] neg_lo:[0,0,1] neg_hi:[0,0,1]
	v_pk_add_f32 v[38:39], v[38:39], v[12:13]
	v_pk_add_f32 v[76:77], v[18:19], v[20:21] neg_lo:[0,1] neg_hi:[0,1]
	v_mov_b32_e32 v12, v6
	v_mov_b32_e32 v13, v9
	s_mov_b32 s34, 0xbf7e222b
	v_pk_add_f32 v[38:39], v[38:39], v[14:15]
	v_pk_add_f32 v[74:75], v[20:21], v[18:19]
	;; [unrolled: 1-line block ×3, first 2 shown]
	s_mov_b32 s10, 0x3df6dbef
	v_pk_mul_f32 v[12:13], v[76:77], s[34:35] op_sel_hi:[1,0]
	s_mov_b32 s18, 0xbf6f5d39
	v_pk_fma_f32 v[10:11], v[74:75], s[10:11], v[12:13] op_sel:[0,0,1] op_sel_hi:[1,0,0]
	v_pk_fma_f32 v[12:13], v[74:75], s[10:11], v[12:13] op_sel:[0,0,1] op_sel_hi:[1,0,0] neg_lo:[0,0,1] neg_hi:[0,0,1]
	v_mov_b32_e32 v16, v10
	v_mov_b32_e32 v17, v13
	v_pk_add_f32 v[18:19], v[16:17], v[14:15]
	s_mov_b32 s16, 0xbeb58ec6
	v_pk_mul_f32 v[16:17], v[72:73], s[18:19] op_sel_hi:[1,0]
	v_pk_add_f32 v[38:39], v[38:39], v[20:21]
	v_pk_fma_f32 v[14:15], v[70:71], s[16:17], v[16:17] op_sel:[0,0,1] op_sel_hi:[1,0,0]
	v_pk_fma_f32 v[16:17], v[70:71], s[16:17], v[16:17] op_sel:[0,0,1] op_sel_hi:[1,0,0] neg_lo:[0,0,1] neg_hi:[0,0,1]
	v_mov_b32_e32 v20, v14
	v_mov_b32_e32 v21, v17
	s_mov_b32 s22, 0xbf29c268
	v_pk_add_f32 v[38:39], v[38:39], v[22:23]
	v_pk_add_f32 v[22:23], v[20:21], v[18:19]
	s_mov_b32 s20, 0xbf3f9e67
	v_pk_mul_f32 v[20:21], v[68:69], s[22:23] op_sel_hi:[1,0]
	v_pk_add_f32 v[38:39], v[38:39], v[36:37]
	v_pk_fma_f32 v[18:19], v[66:67], s[20:21], v[20:21] op_sel:[0,0,1] op_sel_hi:[1,0,0]
	v_pk_fma_f32 v[20:21], v[66:67], s[20:21], v[20:21] op_sel:[0,0,1] op_sel_hi:[1,0,0] neg_lo:[0,0,1] neg_hi:[0,0,1]
	v_mov_b32_e32 v36, v18
	v_mov_b32_e32 v37, v21
	s_mov_b32 s28, 0xbe750f2a
	v_pk_add_f32 v[40:41], v[36:37], v[22:23]
	s_mov_b32 s26, 0xbf788fa5
	v_pk_mul_f32 v[36:37], v[64:65], s[28:29] op_sel_hi:[1,0]
	s_movk_i32 s15, 0x60
	v_pk_fma_f32 v[22:23], v[62:63], s[26:27], v[36:37] op_sel:[0,0,1] op_sel_hi:[1,0,0]
	v_pk_fma_f32 v[36:37], v[62:63], s[26:27], v[36:37] op_sel:[0,0,1] op_sel_hi:[1,0,0] neg_lo:[0,0,1] neg_hi:[0,0,1]
	v_mov_b32_e32 v42, v22
	v_mov_b32_e32 v43, v37
	v_pk_add_f32 v[40:41], v[42:43], v[40:41]
	v_mad_u32_u24 v2, v28, s15, v88
	ds_write2_b64 v2, v[38:39], v[40:41] offset1:1
	v_pk_mul_f32 v[40:41], v[84:85], s[24:25] op_sel_hi:[1,0]
	v_pk_mul_f32 v[44:45], v[80:81], s[18:19] op_sel_hi:[1,0]
	v_pk_fma_f32 v[38:39], v[82:83], s[12:13], v[40:41] op_sel:[0,0,1] op_sel_hi:[1,0,0]
	v_pk_fma_f32 v[40:41], v[82:83], s[12:13], v[40:41] op_sel:[0,0,1] op_sel_hi:[1,0,0] neg_lo:[0,0,1] neg_hi:[0,0,1]
	v_mov_b32_e32 v42, v38
	v_mov_b32_e32 v43, v41
	v_pk_add_f32 v[46:47], v[0:1], v[42:43]
	v_pk_fma_f32 v[42:43], v[78:79], s[16:17], v[44:45] op_sel:[0,0,1] op_sel_hi:[1,0,0]
	v_pk_fma_f32 v[44:45], v[78:79], s[16:17], v[44:45] op_sel:[0,0,1] op_sel_hi:[1,0,0] neg_lo:[0,0,1] neg_hi:[0,0,1]
	v_mov_b32_e32 v48, v42
	v_mov_b32_e32 v49, v45
	v_pk_add_f32 v[50:51], v[48:49], v[46:47]
	v_pk_mul_f32 v[48:49], v[76:77], s[28:29] op_sel_hi:[1,0]
	s_mov_b32 s38, 0x3f29c268
	v_pk_fma_f32 v[46:47], v[74:75], s[26:27], v[48:49] op_sel:[0,0,1] op_sel_hi:[1,0,0]
	v_pk_fma_f32 v[48:49], v[74:75], s[26:27], v[48:49] op_sel:[0,0,1] op_sel_hi:[1,0,0] neg_lo:[0,0,1] neg_hi:[0,0,1]
	v_mov_b32_e32 v52, v46
	v_mov_b32_e32 v53, v49
	v_pk_add_f32 v[54:55], v[52:53], v[50:51]
	v_pk_mul_f32 v[52:53], v[72:73], s[38:39] op_sel_hi:[1,0]
	s_mov_b32 s30, 0x3f7e222b
	;; [unrolled: 7-line block ×3, first 2 shown]
	v_pk_fma_f32 v[54:55], v[66:67], s[10:11], v[56:57] op_sel:[0,0,1] op_sel_hi:[1,0,0]
	v_pk_fma_f32 v[56:57], v[66:67], s[10:11], v[56:57] op_sel:[0,0,1] op_sel_hi:[1,0,0] neg_lo:[0,0,1] neg_hi:[0,0,1]
	v_mov_b32_e32 v60, v54
	v_mov_b32_e32 v61, v57
	v_pk_add_f32 v[86:87], v[60:61], v[58:59]
	v_pk_mul_f32 v[60:61], v[64:65], s[36:37] op_sel_hi:[1,0]
	v_pk_mul_f32 v[100:101], v[80:81], s[28:29] op_sel_hi:[1,0]
	v_pk_fma_f32 v[58:59], v[62:63], s[14:15], v[60:61] op_sel:[0,0,1] op_sel_hi:[1,0,0]
	v_pk_fma_f32 v[60:61], v[62:63], s[14:15], v[60:61] op_sel:[0,0,1] op_sel_hi:[1,0,0] neg_lo:[0,0,1] neg_hi:[0,0,1]
	v_mov_b32_e32 v94, v58
	v_mov_b32_e32 v95, v61
	v_pk_add_f32 v[94:95], v[94:95], v[86:87]
	v_pk_mul_f32 v[86:87], v[84:85], s[34:35] op_sel_hi:[1,0]
	v_pk_fma_f32 v[102:103], v[78:79], s[26:27], v[100:101] op_sel:[0,0,1] op_sel_hi:[1,0,0]
	v_pk_fma_f32 v[96:97], v[82:83], s[10:11], v[86:87] op_sel:[0,0,1] op_sel_hi:[1,0,0]
	v_pk_fma_f32 v[86:87], v[82:83], s[10:11], v[86:87] op_sel:[0,0,1] op_sel_hi:[1,0,0] neg_lo:[0,0,1] neg_hi:[0,0,1]
	v_mov_b32_e32 v98, v96
	v_mov_b32_e32 v99, v87
	v_pk_fma_f32 v[100:101], v[78:79], s[26:27], v[100:101] op_sel:[0,0,1] op_sel_hi:[1,0,0] neg_lo:[0,0,1] neg_hi:[0,0,1]
	v_pk_add_f32 v[98:99], v[0:1], v[98:99]
	v_mov_b32_e32 v104, v102
	v_mov_b32_e32 v105, v101
	s_mov_b32 s40, 0x3f6f5d39
	v_pk_add_f32 v[98:99], v[104:105], v[98:99]
	v_pk_mul_f32 v[104:105], v[76:77], s[40:41] op_sel_hi:[1,0]
	v_pk_mul_f32 v[122:123], v[80:81], s[38:39] op_sel_hi:[1,0]
	v_pk_fma_f32 v[106:107], v[74:75], s[16:17], v[104:105] op_sel:[0,0,1] op_sel_hi:[1,0,0]
	v_pk_fma_f32 v[104:105], v[74:75], s[16:17], v[104:105] op_sel:[0,0,1] op_sel_hi:[1,0,0] neg_lo:[0,0,1] neg_hi:[0,0,1]
	v_mov_b32_e32 v108, v106
	v_mov_b32_e32 v109, v105
	v_pk_add_f32 v[98:99], v[108:109], v[98:99]
	v_pk_mul_f32 v[108:109], v[72:73], s[36:37] op_sel_hi:[1,0]
	v_pk_fma_f32 v[124:125], v[78:79], s[20:21], v[122:123] op_sel:[0,0,1] op_sel_hi:[1,0,0]
	v_pk_fma_f32 v[110:111], v[70:71], s[14:15], v[108:109] op_sel:[0,0,1] op_sel_hi:[1,0,0]
	v_pk_fma_f32 v[108:109], v[70:71], s[14:15], v[108:109] op_sel:[0,0,1] op_sel_hi:[1,0,0] neg_lo:[0,0,1] neg_hi:[0,0,1]
	v_mov_b32_e32 v112, v110
	v_mov_b32_e32 v113, v109
	v_pk_add_f32 v[98:99], v[112:113], v[98:99]
	v_pk_mul_f32 v[112:113], v[68:69], s[24:25] op_sel_hi:[1,0]
	v_pk_fma_f32 v[122:123], v[78:79], s[20:21], v[122:123] op_sel:[0,0,1] op_sel_hi:[1,0,0] neg_lo:[0,0,1] neg_hi:[0,0,1]
	v_pk_fma_f32 v[114:115], v[66:67], s[12:13], v[112:113] op_sel:[0,0,1] op_sel_hi:[1,0,0]
	v_pk_fma_f32 v[112:113], v[66:67], s[12:13], v[112:113] op_sel:[0,0,1] op_sel_hi:[1,0,0] neg_lo:[0,0,1] neg_hi:[0,0,1]
	v_mov_b32_e32 v116, v114
	v_mov_b32_e32 v117, v113
	v_pk_add_f32 v[98:99], v[116:117], v[98:99]
	v_pk_mul_f32 v[116:117], v[64:65], s[22:23] op_sel_hi:[1,0]
	v_mov_b32_e32 v126, v124
	v_pk_fma_f32 v[118:119], v[62:63], s[20:21], v[116:117] op_sel:[0,0,1] op_sel_hi:[1,0,0]
	v_pk_fma_f32 v[116:117], v[62:63], s[20:21], v[116:117] op_sel:[0,0,1] op_sel_hi:[1,0,0] neg_lo:[0,0,1] neg_hi:[0,0,1]
	v_mov_b32_e32 v120, v118
	v_mov_b32_e32 v121, v117
	v_pk_add_f32 v[98:99], v[120:121], v[98:99]
	ds_write2_b64 v2, v[94:95], v[98:99] offset0:2 offset1:3
	v_pk_mul_f32 v[94:95], v[84:85], s[18:19] op_sel_hi:[1,0]
	v_mov_b32_e32 v127, v123
	v_pk_fma_f32 v[98:99], v[82:83], s[16:17], v[94:95] op_sel:[0,0,1] op_sel_hi:[1,0,0]
	v_pk_fma_f32 v[94:95], v[82:83], s[16:17], v[94:95] op_sel:[0,0,1] op_sel_hi:[1,0,0] neg_lo:[0,0,1] neg_hi:[0,0,1]
	v_mov_b32_e32 v120, v98
	v_mov_b32_e32 v121, v95
	v_pk_add_f32 v[120:121], v[0:1], v[120:121]
	s_mov_b32 s38, 0x3f52af12
	v_pk_add_f32 v[120:121], v[126:127], v[120:121]
	v_pk_mul_f32 v[126:127], v[76:77], s[36:37] op_sel_hi:[1,0]
	v_pk_mul_f32 v[148:149], v[80:81], s[30:31] op_sel_hi:[1,0]
	v_pk_fma_f32 v[128:129], v[74:75], s[14:15], v[126:127] op_sel:[0,0,1] op_sel_hi:[1,0,0]
	v_pk_fma_f32 v[126:127], v[74:75], s[14:15], v[126:127] op_sel:[0,0,1] op_sel_hi:[1,0,0] neg_lo:[0,0,1] neg_hi:[0,0,1]
	v_mov_b32_e32 v130, v128
	v_mov_b32_e32 v131, v127
	v_pk_add_f32 v[120:121], v[130:131], v[120:121]
	v_pk_mul_f32 v[130:131], v[72:73], s[34:35] op_sel_hi:[1,0]
	s_mov_b32 s34, 0x3e750f2a
	v_pk_fma_f32 v[132:133], v[70:71], s[10:11], v[130:131] op_sel:[0,0,1] op_sel_hi:[1,0,0]
	v_pk_fma_f32 v[130:131], v[70:71], s[10:11], v[130:131] op_sel:[0,0,1] op_sel_hi:[1,0,0] neg_lo:[0,0,1] neg_hi:[0,0,1]
	v_mov_b32_e32 v134, v132
	v_mov_b32_e32 v135, v131
	v_pk_add_f32 v[120:121], v[134:135], v[120:121]
	v_pk_mul_f32 v[134:135], v[68:69], s[34:35] op_sel_hi:[1,0]
	v_pk_fma_f32 v[150:151], v[78:79], s[10:11], v[148:149] op_sel:[0,0,1] op_sel_hi:[1,0,0]
	v_pk_fma_f32 v[136:137], v[66:67], s[26:27], v[134:135] op_sel:[0,0,1] op_sel_hi:[1,0,0]
	v_pk_fma_f32 v[134:135], v[66:67], s[26:27], v[134:135] op_sel:[0,0,1] op_sel_hi:[1,0,0] neg_lo:[0,0,1] neg_hi:[0,0,1]
	v_mov_b32_e32 v138, v136
	v_mov_b32_e32 v139, v135
	v_pk_add_f32 v[120:121], v[138:139], v[120:121]
	v_pk_mul_f32 v[138:139], v[64:65], s[38:39] op_sel_hi:[1,0]
	v_pk_fma_f32 v[148:149], v[78:79], s[10:11], v[148:149] op_sel:[0,0,1] op_sel_hi:[1,0,0] neg_lo:[0,0,1] neg_hi:[0,0,1]
	v_pk_fma_f32 v[140:141], v[62:63], s[12:13], v[138:139] op_sel:[0,0,1] op_sel_hi:[1,0,0]
	v_pk_fma_f32 v[138:139], v[62:63], s[12:13], v[138:139] op_sel:[0,0,1] op_sel_hi:[1,0,0] neg_lo:[0,0,1] neg_hi:[0,0,1]
	v_mov_b32_e32 v142, v140
	v_mov_b32_e32 v143, v139
	v_pk_add_f32 v[120:121], v[142:143], v[120:121]
	v_pk_mul_f32 v[142:143], v[84:85], s[22:23] op_sel_hi:[1,0]
	v_mov_b32_e32 v152, v150
	v_pk_fma_f32 v[144:145], v[82:83], s[20:21], v[142:143] op_sel:[0,0,1] op_sel_hi:[1,0,0]
	v_pk_fma_f32 v[142:143], v[82:83], s[20:21], v[142:143] op_sel:[0,0,1] op_sel_hi:[1,0,0] neg_lo:[0,0,1] neg_hi:[0,0,1]
	v_mov_b32_e32 v146, v144
	v_mov_b32_e32 v147, v143
	v_pk_add_f32 v[146:147], v[0:1], v[146:147]
	v_mov_b32_e32 v153, v149
	v_pk_add_f32 v[146:147], v[152:153], v[146:147]
	v_pk_mul_f32 v[152:153], v[76:77], s[24:25] op_sel_hi:[1,0]
	v_pk_mul_f32 v[84:85], v[84:85], s[28:29] op_sel_hi:[1,0]
	v_pk_fma_f32 v[154:155], v[74:75], s[12:13], v[152:153] op_sel:[0,0,1] op_sel_hi:[1,0,0]
	v_pk_fma_f32 v[152:153], v[74:75], s[12:13], v[152:153] op_sel:[0,0,1] op_sel_hi:[1,0,0] neg_lo:[0,0,1] neg_hi:[0,0,1]
	v_mov_b32_e32 v156, v154
	v_mov_b32_e32 v157, v153
	v_pk_add_f32 v[146:147], v[156:157], v[146:147]
	v_pk_mul_f32 v[156:157], v[72:73], s[34:35] op_sel_hi:[1,0]
	v_pk_mul_f32 v[80:81], v[80:81], s[36:37] op_sel_hi:[1,0]
	v_pk_fma_f32 v[158:159], v[70:71], s[26:27], v[156:157] op_sel:[0,0,1] op_sel_hi:[1,0,0]
	v_pk_fma_f32 v[156:157], v[70:71], s[26:27], v[156:157] op_sel:[0,0,1] op_sel_hi:[1,0,0] neg_lo:[0,0,1] neg_hi:[0,0,1]
	v_mov_b32_e32 v160, v158
	v_mov_b32_e32 v161, v157
	v_pk_add_f32 v[146:147], v[160:161], v[146:147]
	v_pk_mul_f32 v[160:161], v[68:69], s[36:37] op_sel_hi:[1,0]
	v_pk_mul_f32 v[76:77], v[76:77], s[22:23] op_sel_hi:[1,0]
	v_pk_fma_f32 v[162:163], v[66:67], s[14:15], v[160:161] op_sel:[0,0,1] op_sel_hi:[1,0,0]
	v_pk_fma_f32 v[160:161], v[66:67], s[14:15], v[160:161] op_sel:[0,0,1] op_sel_hi:[1,0,0] neg_lo:[0,0,1] neg_hi:[0,0,1]
	v_mov_b32_e32 v164, v162
	v_mov_b32_e32 v165, v161
	v_pk_add_f32 v[146:147], v[164:165], v[146:147]
	v_pk_mul_f32 v[164:165], v[64:65], s[18:19] op_sel_hi:[1,0]
	v_pk_mul_f32 v[72:73], v[72:73], s[38:39] op_sel_hi:[1,0]
	v_pk_fma_f32 v[166:167], v[62:63], s[16:17], v[164:165] op_sel:[0,0,1] op_sel_hi:[1,0,0]
	v_pk_fma_f32 v[164:165], v[62:63], s[16:17], v[164:165] op_sel:[0,0,1] op_sel_hi:[1,0,0] neg_lo:[0,0,1] neg_hi:[0,0,1]
	v_mov_b32_e32 v168, v166
	v_mov_b32_e32 v169, v165
	v_pk_add_f32 v[146:147], v[168:169], v[146:147]
	ds_write2_b64 v2, v[120:121], v[146:147] offset0:4 offset1:5
	v_pk_fma_f32 v[120:121], v[82:83], s[26:27], v[84:85] op_sel:[0,0,1] op_sel_hi:[1,0,0]
	v_pk_fma_f32 v[82:83], v[82:83], s[26:27], v[84:85] op_sel:[0,0,1] op_sel_hi:[1,0,0] neg_lo:[0,0,1] neg_hi:[0,0,1]
	v_pk_fma_f32 v[84:85], v[78:79], s[14:15], v[80:81] op_sel:[0,0,1] op_sel_hi:[1,0,0]
	v_pk_fma_f32 v[78:79], v[78:79], s[14:15], v[80:81] op_sel:[0,0,1] op_sel_hi:[1,0,0] neg_lo:[0,0,1] neg_hi:[0,0,1]
	v_mov_b32_e32 v80, v120
	v_mov_b32_e32 v81, v83
	v_pk_add_f32 v[80:81], v[0:1], v[80:81]
	v_mov_b32_e32 v146, v84
	v_mov_b32_e32 v147, v79
	v_pk_add_f32 v[80:81], v[146:147], v[80:81]
	v_pk_fma_f32 v[146:147], v[74:75], s[20:21], v[76:77] op_sel:[0,0,1] op_sel_hi:[1,0,0]
	v_pk_fma_f32 v[74:75], v[74:75], s[20:21], v[76:77] op_sel:[0,0,1] op_sel_hi:[1,0,0] neg_lo:[0,0,1] neg_hi:[0,0,1]
	v_mov_b32_e32 v76, v146
	v_mov_b32_e32 v77, v75
	v_pk_add_f32 v[76:77], v[76:77], v[80:81]
	v_pk_fma_f32 v[80:81], v[70:71], s[12:13], v[72:73] op_sel:[0,0,1] op_sel_hi:[1,0,0]
	v_pk_fma_f32 v[70:71], v[70:71], s[12:13], v[72:73] op_sel:[0,0,1] op_sel_hi:[1,0,0] neg_lo:[0,0,1] neg_hi:[0,0,1]
	v_mov_b32_e32 v72, v80
	v_mov_b32_e32 v73, v71
	v_pk_mul_f32 v[68:69], v[68:69], s[18:19] op_sel_hi:[1,0]
	v_pk_add_f32 v[72:73], v[72:73], v[76:77]
	v_pk_fma_f32 v[76:77], v[66:67], s[16:17], v[68:69] op_sel:[0,0,1] op_sel_hi:[1,0,0]
	v_pk_fma_f32 v[66:67], v[66:67], s[16:17], v[68:69] op_sel:[0,0,1] op_sel_hi:[1,0,0] neg_lo:[0,0,1] neg_hi:[0,0,1]
	v_mov_b32_e32 v68, v76
	v_mov_b32_e32 v69, v67
	v_pk_mul_f32 v[64:65], v[64:65], s[30:31] op_sel_hi:[1,0]
	v_pk_add_f32 v[68:69], v[68:69], v[72:73]
	v_pk_fma_f32 v[72:73], v[62:63], s[10:11], v[64:65] op_sel:[0,0,1] op_sel_hi:[1,0,0]
	v_pk_fma_f32 v[62:63], v[62:63], s[10:11], v[64:65] op_sel:[0,0,1] op_sel_hi:[1,0,0] neg_lo:[0,0,1] neg_hi:[0,0,1]
	v_mov_b32_e32 v64, v72
	v_mov_b32_e32 v65, v63
	;; [unrolled: 1-line block ×3, first 2 shown]
	v_pk_add_f32 v[64:65], v[64:65], v[68:69]
	v_mov_b32_e32 v79, v85
	v_pk_add_f32 v[68:69], v[0:1], v[82:83]
	v_mov_b32_e32 v75, v147
	;; [unrolled: 2-line block ×7, first 2 shown]
	ds_write2_b64 v2, v[64:65], v[62:63] offset0:6 offset1:7
	v_mov_b32_e32 v149, v151
	v_pk_add_f32 v[62:63], v[0:1], v[142:143]
	v_mov_b32_e32 v123, v125
	v_pk_add_f32 v[64:65], v[0:1], v[94:95]
	v_pk_add_f32 v[62:63], v[148:149], v[62:63]
	v_mov_b32_e32 v153, v155
	v_pk_add_f32 v[64:65], v[122:123], v[64:65]
	v_mov_b32_e32 v127, v129
	;; [unrolled: 2-line block ×8, first 2 shown]
	v_pk_add_f32 v[62:63], v[164:165], v[62:63]
	v_pk_add_f32 v[64:65], v[138:139], v[64:65]
	v_mov_b32_e32 v87, v97
	v_mov_b32_e32 v41, v39
	;; [unrolled: 1-line block ×3, first 2 shown]
	ds_write2_b64 v2, v[62:63], v[64:65] offset0:8 offset1:9
	v_mov_b32_e32 v101, v103
	v_pk_add_f32 v[62:63], v[0:1], v[86:87]
	v_pk_add_f32 v[38:39], v[0:1], v[40:41]
	v_mov_b32_e32 v45, v43
	v_pk_add_f32 v[0:1], v[0:1], v[4:5]
	v_mov_b32_e32 v9, v7
	;; [unrolled: 2-line block ×14, first 2 shown]
	v_pk_add_f32 v[62:63], v[116:117], v[62:63]
	v_pk_add_f32 v[38:39], v[60:61], v[38:39]
	;; [unrolled: 1-line block ×3, first 2 shown]
	ds_write2_b64 v2, v[62:63], v[38:39] offset0:10 offset1:11
	ds_write_b64 v2, v[0:1] offset:96
.LBB0_21:
	s_or_b64 exec, exec, s[4:5]
	v_add_u32_e32 v59, 0x9c, v28
	s_movk_i32 s4, 0x4ec5
	v_mul_u32_u24_sdwa v0, v59, s4 dst_sel:DWORD dst_unused:UNUSED_PAD src0_sel:WORD_0 src1_sel:DWORD
	v_lshrrev_b32_e32 v54, 18, v0
	v_mul_u32_u24_sdwa v0, v34, s4 dst_sel:DWORD dst_unused:UNUSED_PAD src0_sel:WORD_0 src1_sel:DWORD
	v_mul_u32_u24_sdwa v1, v32, s4 dst_sel:DWORD dst_unused:UNUSED_PAD src0_sel:WORD_0 src1_sel:DWORD
	v_lshrrev_b32_e32 v55, 18, v0
	v_lshrrev_b32_e32 v57, 18, v1
	v_mul_lo_u16_e32 v0, 13, v55
	v_mul_lo_u16_e32 v1, 13, v57
	v_sub_u16_e32 v56, v34, v0
	v_sub_u16_e32 v58, v32, v1
	v_lshlrev_b32_e32 v0, 4, v56
	v_lshlrev_b32_e32 v1, 4, v58
	s_movk_i32 s4, 0x4f
	s_waitcnt lgkmcnt(0)
	s_barrier
	global_load_dwordx4 v[2:5], v0, s[8:9]
	global_load_dwordx4 v[6:9], v1, s[8:9]
	v_mul_lo_u16_e32 v0, 13, v54
	v_mul_lo_u16_sdwa v1, v28, s4 dst_sel:DWORD dst_unused:UNUSED_PAD src0_sel:BYTE_0 src1_sel:DWORD
	v_sub_u16_e32 v60, v59, v0
	v_lshrrev_b16_e32 v61, 10, v1
	v_lshlrev_b32_e32 v0, 4, v60
	v_mul_lo_u16_e32 v1, 13, v61
	global_load_dwordx4 v[10:13], v0, s[8:9]
	v_mov_b32_e32 v0, 4
	v_sub_u16_e32 v62, v28, v1
	v_lshlrev_b32_sdwa v0, v0, v62 dst_sel:DWORD dst_unused:UNUSED_PAD src0_sel:DWORD src1_sel:BYTE_0
	global_load_dwordx4 v[14:17], v0, s[8:9]
	v_add_u32_e32 v0, 0x1200, v88
	v_add_u32_e32 v68, 0x2000, v88
	;; [unrolled: 1-line block ×4, first 2 shown]
	ds_read_b64 v[22:23], v88 offset:13728
	ds_read_b64 v[48:49], v90
	ds_read_b64 v[50:51], v89
	ds_read2_b64 v[18:21], v88 offset1:156
	ds_read2_b64 v[36:39], v0 offset0:48 offset1:204
	ds_read2_b64 v[40:43], v68 offset0:68 offset1:224
	;; [unrolled: 1-line block ×3, first 2 shown]
	ds_read2_b32 v[52:53], v1 offset0:80 offset1:81
	s_mov_b32 s4, 0x5040100
	v_perm_b32 v55, v57, v55, s4
	v_mov_b32_e32 v70, 3
	v_mul_u32_u24_e32 v54, 0x138, v54
	v_pk_mul_lo_u16 v55, v55, s11 op_sel_hi:[1,0]
	v_lshlrev_b32_e32 v60, 3, v60
	v_mul_u32_u24_e32 v61, 0x138, v61
	v_lshlrev_b32_sdwa v57, v70, v62 dst_sel:DWORD dst_unused:UNUSED_PAD src0_sel:DWORD src1_sel:BYTE_0
	v_and_b32_e32 v62, 0xfff8, v55
	v_lshlrev_b32_e32 v56, 3, v56
	v_lshrrev_b32_e32 v55, 16, v55
	v_lshlrev_b32_e32 v58, 3, v58
	v_add3_u32 v71, 0, v54, v60
	s_waitcnt lgkmcnt(0)
	v_mov_b32_e32 v54, v53
	v_add3_u32 v61, 0, v61, v57
	v_add3_u32 v72, 0, v62, v56
	;; [unrolled: 1-line block ×3, first 2 shown]
	s_mov_b32 s4, 0x3f5db3d7
	s_barrier
	s_mov_b32 s14, 0.5
	s_mov_b32 s15, s4
	s_mov_b32 s10, -0.5
	s_mov_b32 s11, s4
	s_movk_i32 s12, 0x2000
	s_waitcnt vmcnt(3)
	v_pk_mul_f32 v[54:55], v[54:55], v[2:3] op_sel_hi:[0,1]
	s_waitcnt vmcnt(2)
	v_pk_mul_f32 v[56:57], v[40:41], v[6:7] op_sel:[0,1]
	v_mov_b32_e32 v58, v9
	v_pk_fma_f32 v[66:67], v[40:41], v[6:7], v[56:57] op_sel:[0,0,1] op_sel_hi:[1,1,0]
	v_pk_fma_f32 v[6:7], v[40:41], v[6:7], v[56:57] op_sel:[0,0,1] op_sel_hi:[1,0,0] neg_lo:[0,0,1] neg_hi:[0,0,1]
	v_pk_fma_f32 v[56:57], v[2:3], v[52:53], v[54:55] op_sel:[0,0,1] op_sel_hi:[1,1,0]
	v_pk_fma_f32 v[2:3], v[2:3], v[52:53], v[54:55] op_sel:[0,0,1] op_sel_hi:[1,0,0] neg_lo:[1,0,0] neg_hi:[1,0,0]
	v_pk_mul_f32 v[40:41], v[22:23], v[58:59] op_sel_hi:[1,0]
	s_waitcnt vmcnt(1)
	v_pk_mul_f32 v[62:63], v[10:11], v[38:39] op_sel:[0,1]
	v_pk_mul_f32 v[64:65], v[12:13], v[44:45] op_sel:[0,1]
	v_pk_fma_f32 v[54:55], v[10:11], v[38:39], v[62:63] op_sel:[0,0,1] op_sel_hi:[1,1,0]
	v_pk_fma_f32 v[10:11], v[10:11], v[38:39], v[62:63] op_sel:[0,0,1] op_sel_hi:[1,0,0] neg_lo:[1,0,0] neg_hi:[1,0,0]
	v_pk_fma_f32 v[38:39], v[12:13], v[44:45], v[64:65] op_sel:[0,0,1] op_sel_hi:[1,1,0]
	v_pk_fma_f32 v[12:13], v[12:13], v[44:45], v[64:65] op_sel:[0,0,1] op_sel_hi:[1,0,0] neg_lo:[1,0,0] neg_hi:[1,0,0]
	v_mov_b32_e32 v67, v7
	v_mov_b32_e32 v39, v13
	s_waitcnt vmcnt(0)
	v_pk_mul_f32 v[12:13], v[14:15], v[36:37] op_sel:[0,1]
	v_pk_fma_f32 v[6:7], v[22:23], v[8:9], v[40:41] op_sel:[0,0,1] op_sel_hi:[1,1,0]
	v_pk_fma_f32 v[8:9], v[22:23], v[8:9], v[40:41] op_sel:[0,0,1] op_sel_hi:[1,0,0] neg_lo:[0,0,1] neg_hi:[0,0,1]
	v_pk_fma_f32 v[22:23], v[14:15], v[36:37], v[12:13] op_sel:[0,0,1] op_sel_hi:[1,1,0]
	v_pk_fma_f32 v[12:13], v[14:15], v[36:37], v[12:13] op_sel:[0,0,1] op_sel_hi:[1,0,0] neg_lo:[1,0,0] neg_hi:[1,0,0]
	v_mov_b32_e32 v55, v11
	v_mov_b32_e32 v23, v13
	v_pk_mul_f32 v[12:13], v[16:17], v[42:43] op_sel:[0,1]
	v_mov_b32_e32 v60, v5
	v_pk_fma_f32 v[14:15], v[16:17], v[42:43], v[12:13] op_sel:[0,0,1] op_sel_hi:[1,1,0]
	v_pk_fma_f32 v[12:13], v[16:17], v[42:43], v[12:13] op_sel:[0,0,1] op_sel_hi:[1,0,0] neg_lo:[1,0,0] neg_hi:[1,0,0]
	v_pk_mul_f32 v[52:53], v[46:47], v[60:61] op_sel_hi:[1,0]
	v_mov_b32_e32 v15, v13
	v_pk_add_f32 v[12:13], v[18:19], v[22:23]
	v_pk_add_f32 v[16:17], v[22:23], v[14:15]
	;; [unrolled: 1-line block ×3, first 2 shown]
	v_pk_add_f32 v[14:15], v[22:23], v[14:15] neg_lo:[0,1] neg_hi:[0,1]
	v_pk_fma_f32 v[16:17], v[16:17], 0.5, v[18:19] op_sel_hi:[1,0,1] neg_lo:[1,0,0] neg_hi:[1,0,0]
	v_pk_mul_f32 v[14:15], v[14:15], s[4:5] op_sel_hi:[1,0]
	v_mov_b32_e32 v57, v3
	v_pk_add_f32 v[18:19], v[16:17], v[14:15] op_sel:[0,1] op_sel_hi:[1,0] neg_lo:[0,1] neg_hi:[0,1]
	v_pk_add_f32 v[14:15], v[16:17], v[14:15] op_sel:[0,1] op_sel_hi:[1,0]
	v_mov_b32_e32 v16, v18
	v_mov_b32_e32 v17, v15
	;; [unrolled: 1-line block ×3, first 2 shown]
	ds_write2_b64 v61, v[12:13], v[16:17] offset1:13
	ds_write_b64 v61, v[14:15] offset:208
	v_pk_add_f32 v[12:13], v[54:55], v[38:39]
	v_pk_add_f32 v[14:15], v[54:55], v[38:39] neg_lo:[0,1] neg_hi:[0,1]
	v_pk_fma_f32 v[12:13], v[12:13], 0.5, v[20:21] op_sel_hi:[1,0,1] neg_lo:[1,0,0] neg_hi:[1,0,0]
	v_pk_mul_f32 v[14:15], v[14:15], s[4:5] op_sel_hi:[1,0]
	v_pk_fma_f32 v[2:3], v[46:47], v[4:5], v[52:53] op_sel:[0,0,1] op_sel_hi:[1,1,0]
	v_pk_fma_f32 v[4:5], v[46:47], v[4:5], v[52:53] op_sel:[0,0,1] op_sel_hi:[1,0,0] neg_lo:[0,0,1] neg_hi:[0,0,1]
	v_pk_add_f32 v[10:11], v[20:21], v[54:55]
	v_pk_add_f32 v[16:17], v[12:13], v[14:15] op_sel:[0,1] op_sel_hi:[1,0] neg_lo:[0,1] neg_hi:[0,1]
	v_pk_add_f32 v[12:13], v[12:13], v[14:15] op_sel:[0,1] op_sel_hi:[1,0]
	v_mov_b32_e32 v3, v5
	v_pk_add_f32 v[4:5], v[50:51], v[56:57]
	v_pk_add_f32 v[10:11], v[10:11], v[38:39]
	v_mov_b32_e32 v14, v16
	v_mov_b32_e32 v15, v13
	v_pk_add_f32 v[4:5], v[4:5], v[2:3]
	ds_write2_b64 v71, v[10:11], v[14:15] offset1:13
	v_pk_add_f32 v[10:11], v[56:57], v[2:3]
	v_pk_add_f32 v[2:3], v[56:57], v[2:3] neg_lo:[0,1] neg_hi:[0,1]
	v_mov_b32_e32 v13, v17
	v_pk_fma_f32 v[10:11], v[10:11], 0.5, v[50:51] op_sel_hi:[1,0,1] neg_lo:[1,0,0] neg_hi:[1,0,0]
	v_pk_mul_f32 v[2:3], v[2:3], s[4:5] op_sel_hi:[1,0]
	ds_write_b64 v71, v[12:13] offset:208
	v_pk_add_f32 v[12:13], v[10:11], v[2:3] op_sel:[0,1] op_sel_hi:[1,0] neg_lo:[0,1] neg_hi:[0,1]
	v_pk_add_f32 v[2:3], v[10:11], v[2:3] op_sel:[0,1] op_sel_hi:[1,0]
	v_mov_b32_e32 v7, v9
	v_mov_b32_e32 v10, v12
	;; [unrolled: 1-line block ×4, first 2 shown]
	ds_write2_b64 v72, v[4:5], v[10:11] offset1:13
	ds_write_b64 v72, v[2:3] offset:208
	v_pk_add_f32 v[2:3], v[66:67], v[6:7]
	v_pk_add_f32 v[4:5], v[66:67], v[6:7] neg_lo:[0,1] neg_hi:[0,1]
	v_pk_add_f32 v[8:9], v[48:49], v[66:67]
	v_pk_fma_f32 v[2:3], v[2:3], 0.5, v[48:49] op_sel_hi:[1,0,1] neg_lo:[1,0,0] neg_hi:[1,0,0]
	v_pk_mul_f32 v[4:5], v[4:5], s[4:5] op_sel_hi:[1,0]
	v_pk_add_f32 v[8:9], v[8:9], v[6:7]
	v_pk_add_f32 v[6:7], v[2:3], v[4:5] op_sel:[0,1] op_sel_hi:[1,0] neg_lo:[0,1] neg_hi:[0,1]
	v_pk_add_f32 v[2:3], v[2:3], v[4:5] op_sel:[0,1] op_sel_hi:[1,0]
	s_mov_b32 s5, 0xa41b
	v_mov_b32_e32 v5, v3
	v_mov_b32_e32 v3, v7
	ds_write_b64 v73, v[2:3] offset:208
	v_mul_u32_u24_sdwa v2, v34, s5 dst_sel:DWORD dst_unused:UNUSED_PAD src0_sel:WORD_0 src1_sel:DWORD
	v_sub_u16_sdwa v3, v34, v2 dst_sel:DWORD dst_unused:UNUSED_PAD src0_sel:DWORD src1_sel:WORD_1
	v_lshrrev_b16_e32 v3, 1, v3
	v_add_u16_sdwa v2, v3, v2 dst_sel:DWORD dst_unused:UNUSED_PAD src0_sel:DWORD src1_sel:WORD_1
	v_lshrrev_b16_e32 v40, 5, v2
	v_mul_lo_u16_e32 v2, 39, v40
	v_sub_u16_e32 v41, v34, v2
	v_mul_u32_u24_e32 v2, 3, v41
	v_mov_b32_e32 v4, v6
	v_lshlrev_b32_e32 v6, 3, v2
	ds_write2_b64 v73, v[8:9], v[4:5] offset1:13
	s_waitcnt lgkmcnt(0)
	s_barrier
	global_load_dwordx4 v[2:5], v6, s[8:9] offset:208
	global_load_dwordx2 v[22:23], v6, s[8:9] offset:224
	v_mul_u32_u24_sdwa v6, v59, s5 dst_sel:DWORD dst_unused:UNUSED_PAD src0_sel:WORD_0 src1_sel:DWORD
	v_sub_u16_sdwa v7, v59, v6 dst_sel:DWORD dst_unused:UNUSED_PAD src0_sel:DWORD src1_sel:WORD_1
	v_lshrrev_b16_e32 v7, 1, v7
	v_add_u16_sdwa v6, v7, v6 dst_sel:DWORD dst_unused:UNUSED_PAD src0_sel:DWORD src1_sel:WORD_1
	v_lshrrev_b16_e32 v42, 5, v6
	v_mul_lo_u16_e32 v6, 39, v42
	v_sub_u16_e32 v43, v59, v6
	v_mul_u32_u24_e32 v6, 3, v43
	v_lshlrev_b32_e32 v10, 3, v6
	s_movk_i32 s5, 0xa5
	global_load_dwordx4 v[6:9], v10, s[8:9] offset:208
	global_load_dwordx2 v[44:45], v10, s[8:9] offset:224
	v_mul_lo_u16_sdwa v10, v28, s5 dst_sel:DWORD dst_unused:UNUSED_PAD src0_sel:BYTE_0 src1_sel:DWORD
	v_sub_u16_sdwa v11, v28, v10 dst_sel:DWORD dst_unused:UNUSED_PAD src0_sel:DWORD src1_sel:BYTE_1
	v_lshrrev_b16_e32 v11, 1, v11
	v_and_b32_e32 v11, 0x7f, v11
	v_add_u16_sdwa v10, v11, v10 dst_sel:DWORD dst_unused:UNUSED_PAD src0_sel:DWORD src1_sel:BYTE_1
	v_lshrrev_b16_e32 v10, 5, v10
	v_and_b32_e32 v48, 7, v10
	v_mul_lo_u16_e32 v10, 39, v48
	v_sub_u16_e32 v49, v28, v10
	v_mul_u32_u24_sdwa v10, v49, v70 dst_sel:DWORD dst_unused:UNUSED_PAD src0_sel:BYTE_0 src1_sel:DWORD
	v_lshlrev_b32_e32 v14, 3, v10
	global_load_dwordx4 v[10:13], v14, s[8:9] offset:208
	global_load_dwordx2 v[46:47], v14, s[8:9] offset:224
	ds_read2_b64 v[14:17], v1 offset0:40 offset1:196
	ds_read2_b64 v[18:21], v91 offset0:96 offset1:252
	;; [unrolled: 1-line block ×3, first 2 shown]
	s_movk_i32 s5, 0x4e0
	v_mul_u32_u24_sdwa v48, v48, s5 dst_sel:DWORD dst_unused:UNUSED_PAD src0_sel:WORD_0 src1_sel:DWORD
	v_lshlrev_b32_sdwa v49, v70, v49 dst_sel:DWORD dst_unused:UNUSED_PAD src0_sel:DWORD src1_sel:BYTE_0
	v_mul_u32_u24_e32 v42, 0x4e0, v42
	v_lshlrev_b32_e32 v43, 3, v43
	v_mul_u32_u24_e32 v40, 0x4e0, v40
	v_lshlrev_b32_e32 v41, 3, v41
	v_add_u32_e32 v59, 0x3000, v88
	v_add3_u32 v56, 0, v48, v49
	v_add3_u32 v57, 0, v42, v43
	;; [unrolled: 1-line block ×3, first 2 shown]
	ds_read_b64 v[48:49], v90
	ds_read_b64 v[50:51], v89
	ds_read2_b64 v[40:43], v59 offset0:24 offset1:180
	s_waitcnt vmcnt(5) lgkmcnt(3)
	v_pk_mul_f32 v[52:53], v[38:39], v[2:3] op_sel:[0,1]
	s_nop 0
	v_pk_fma_f32 v[54:55], v[38:39], v[2:3], v[52:53] op_sel:[0,0,1] op_sel_hi:[1,1,0]
	v_pk_fma_f32 v[2:3], v[38:39], v[2:3], v[52:53] op_sel:[0,0,1] op_sel_hi:[1,0,0] neg_lo:[0,0,1] neg_hi:[0,0,1]
	s_nop 0
	v_mov_b32_e32 v2, v5
	v_mov_b32_e32 v55, v3
	v_pk_mul_f32 v[2:3], v[18:19], v[2:3] op_sel_hi:[1,0]
	s_nop 0
	v_pk_fma_f32 v[38:39], v[18:19], v[4:5], v[2:3] op_sel:[0,0,1] op_sel_hi:[1,1,0]
	v_pk_fma_f32 v[2:3], v[18:19], v[4:5], v[2:3] op_sel:[0,0,1] op_sel_hi:[1,0,0] neg_lo:[0,0,1] neg_hi:[0,0,1]
	s_nop 0
	v_mov_b32_e32 v39, v3
	s_waitcnt vmcnt(4) lgkmcnt(0)
	v_pk_mul_f32 v[2:3], v[42:43], v[22:23] op_sel:[0,1]
	v_pk_add_f32 v[18:19], v[50:51], v[38:39] neg_lo:[0,1] neg_hi:[0,1]
	v_pk_fma_f32 v[4:5], v[42:43], v[22:23], v[2:3] op_sel:[0,0,1] op_sel_hi:[1,1,0]
	v_pk_fma_f32 v[2:3], v[42:43], v[22:23], v[2:3] op_sel:[0,0,1] op_sel_hi:[1,0,0] neg_lo:[0,0,1] neg_hi:[0,0,1]
	s_nop 0
	v_mov_b32_e32 v5, v3
	v_pk_add_f32 v[22:23], v[54:55], v[4:5] neg_lo:[0,1] neg_hi:[0,1]
	v_pk_fma_f32 v[2:3], v[50:51], 2.0, v[18:19] op_sel_hi:[1,0,1] neg_lo:[0,0,1] neg_hi:[0,0,1]
	v_pk_fma_f32 v[4:5], v[54:55], 2.0, v[22:23] op_sel_hi:[1,0,1] neg_lo:[0,0,1] neg_hi:[0,0,1]
	s_waitcnt vmcnt(3)
	v_pk_mul_f32 v[50:51], v[6:7], v[36:37] op_sel:[0,1]
	v_pk_add_f32 v[38:39], v[2:3], v[4:5] neg_lo:[0,1] neg_hi:[0,1]
	v_pk_fma_f32 v[52:53], v[6:7], v[36:37], v[50:51] op_sel:[0,0,1] op_sel_hi:[1,1,0]
	v_pk_fma_f32 v[42:43], v[2:3], 2.0, v[38:39] op_sel_hi:[1,0,1] neg_lo:[0,0,1] neg_hi:[0,0,1]
	ds_read2_b64 v[2:5], v88 offset1:156
	v_pk_fma_f32 v[6:7], v[6:7], v[36:37], v[50:51] op_sel:[0,0,1] op_sel_hi:[1,0,0] neg_lo:[1,0,0] neg_hi:[1,0,0]
	s_waitcnt lgkmcnt(0)
	v_mov_b32_e32 v53, v7
	v_pk_mul_f32 v[6:7], v[8:9], v[16:17] op_sel:[0,1]
	s_barrier
	v_pk_fma_f32 v[36:37], v[8:9], v[16:17], v[6:7] op_sel:[0,0,1] op_sel_hi:[1,1,0]
	v_pk_fma_f32 v[6:7], v[8:9], v[16:17], v[6:7] op_sel:[0,0,1] op_sel_hi:[1,0,0] neg_lo:[1,0,0] neg_hi:[1,0,0]
	s_nop 0
	v_mov_b32_e32 v37, v7
	s_waitcnt vmcnt(2)
	v_pk_mul_f32 v[6:7], v[40:41], v[44:45] op_sel:[0,1]
	s_nop 0
	v_pk_fma_f32 v[8:9], v[40:41], v[44:45], v[6:7] op_sel:[0,0,1] op_sel_hi:[1,1,0]
	v_pk_fma_f32 v[6:7], v[40:41], v[44:45], v[6:7] op_sel:[0,0,1] op_sel_hi:[1,0,0] neg_lo:[0,0,1] neg_hi:[0,0,1]
	s_nop 0
	v_mov_b32_e32 v9, v7
	v_pk_add_f32 v[6:7], v[4:5], v[36:37] neg_lo:[0,1] neg_hi:[0,1]
	s_waitcnt vmcnt(1)
	v_pk_mul_f32 v[36:37], v[10:11], v[48:49] op_sel:[0,1]
	v_pk_add_f32 v[8:9], v[52:53], v[8:9] neg_lo:[0,1] neg_hi:[0,1]
	v_pk_fma_f32 v[40:41], v[10:11], v[48:49], v[36:37] op_sel:[0,0,1] op_sel_hi:[1,1,0]
	v_pk_fma_f32 v[10:11], v[10:11], v[48:49], v[36:37] op_sel:[0,0,1] op_sel_hi:[1,0,0] neg_lo:[1,0,0] neg_hi:[1,0,0]
	v_pk_fma_f32 v[4:5], v[4:5], 2.0, v[6:7] op_sel_hi:[1,0,1] neg_lo:[0,0,1] neg_hi:[0,0,1]
	v_mov_b32_e32 v41, v11
	v_pk_mul_f32 v[10:11], v[12:13], v[14:15] op_sel:[0,1]
	v_pk_fma_f32 v[16:17], v[52:53], 2.0, v[8:9] op_sel_hi:[1,0,1] neg_lo:[0,0,1] neg_hi:[0,0,1]
	v_pk_fma_f32 v[36:37], v[12:13], v[14:15], v[10:11] op_sel:[0,0,1] op_sel_hi:[1,1,0]
	v_pk_fma_f32 v[10:11], v[12:13], v[14:15], v[10:11] op_sel:[0,0,1] op_sel_hi:[1,0,0] neg_lo:[1,0,0] neg_hi:[1,0,0]
	v_pk_add_f32 v[16:17], v[4:5], v[16:17] neg_lo:[0,1] neg_hi:[0,1]
	v_mov_b32_e32 v37, v11
	s_waitcnt vmcnt(0)
	v_pk_mul_f32 v[10:11], v[46:47], v[20:21] op_sel:[0,1]
	v_pk_fma_f32 v[4:5], v[4:5], 2.0, v[16:17] op_sel_hi:[1,0,1] neg_lo:[0,0,1] neg_hi:[0,0,1]
	v_pk_fma_f32 v[12:13], v[46:47], v[20:21], v[10:11] op_sel:[0,0,1] op_sel_hi:[1,1,0]
	v_pk_fma_f32 v[10:11], v[46:47], v[20:21], v[10:11] op_sel:[0,0,1] op_sel_hi:[1,0,0] neg_lo:[1,0,0] neg_hi:[1,0,0]
	s_nop 0
	v_mov_b32_e32 v13, v11
	v_pk_add_f32 v[10:11], v[2:3], v[36:37] neg_lo:[0,1] neg_hi:[0,1]
	v_pk_add_f32 v[12:13], v[40:41], v[12:13] neg_lo:[0,1] neg_hi:[0,1]
	v_pk_fma_f32 v[2:3], v[2:3], 2.0, v[10:11] op_sel_hi:[1,0,1] neg_lo:[0,0,1] neg_hi:[0,0,1]
	v_pk_fma_f32 v[14:15], v[40:41], 2.0, v[12:13] op_sel_hi:[1,0,1] neg_lo:[0,0,1] neg_hi:[0,0,1]
	v_pk_add_f32 v[20:21], v[10:11], v[12:13] op_sel:[0,1] op_sel_hi:[1,0]
	v_pk_add_f32 v[12:13], v[10:11], v[12:13] op_sel:[0,1] op_sel_hi:[1,0] neg_lo:[0,1] neg_hi:[0,1]
	v_pk_add_f32 v[14:15], v[2:3], v[14:15] neg_lo:[0,1] neg_hi:[0,1]
	v_mov_b32_e32 v21, v13
	v_pk_fma_f32 v[2:3], v[2:3], 2.0, v[14:15] op_sel_hi:[1,0,1] neg_lo:[0,0,1] neg_hi:[0,0,1]
	v_pk_fma_f32 v[10:11], v[10:11], 2.0, v[20:21] op_sel_hi:[1,0,1] neg_lo:[0,0,1] neg_hi:[0,0,1]
	ds_write2_b64 v56, v[2:3], v[10:11] offset1:39
	ds_write2_b64 v56, v[14:15], v[20:21] offset0:78 offset1:117
	v_pk_add_f32 v[2:3], v[6:7], v[8:9] op_sel:[0,1] op_sel_hi:[1,0]
	v_pk_add_f32 v[8:9], v[6:7], v[8:9] op_sel:[0,1] op_sel_hi:[1,0] neg_lo:[0,1] neg_hi:[0,1]
	s_nop 0
	v_mov_b32_e32 v3, v9
	v_pk_fma_f32 v[6:7], v[6:7], 2.0, v[2:3] op_sel_hi:[1,0,1] neg_lo:[0,0,1] neg_hi:[0,0,1]
	ds_write2_b64 v57, v[4:5], v[6:7] offset1:39
	ds_write2_b64 v57, v[16:17], v[2:3] offset0:78 offset1:117
	v_pk_add_f32 v[2:3], v[18:19], v[22:23] op_sel:[0,1] op_sel_hi:[1,0]
	v_pk_add_f32 v[4:5], v[18:19], v[22:23] op_sel:[0,1] op_sel_hi:[1,0] neg_lo:[0,1] neg_hi:[0,1]
	s_nop 0
	v_mov_b32_e32 v3, v5
	v_pk_fma_f32 v[4:5], v[18:19], 2.0, v[2:3] op_sel_hi:[1,0,1] neg_lo:[0,0,1] neg_hi:[0,0,1]
	ds_write2_b64 v58, v[42:43], v[4:5] offset1:39
	ds_write2_b64 v58, v[38:39], v[2:3] offset0:78 offset1:117
	v_mul_u32_u24_e32 v2, 5, v28
	v_lshlrev_b32_e32 v10, 3, v2
	s_waitcnt lgkmcnt(0)
	s_barrier
	global_load_dwordx4 v[2:5], v10, s[8:9] offset:1144
	global_load_dwordx4 v[6:9], v10, s[8:9] offset:1160
	global_load_dwordx2 v[22:23], v10, s[8:9] offset:1176
	v_add_u32_e32 v10, 0xc00, v88
	ds_read2_b64 v[10:13], v10 offset0:84 offset1:240
	ds_read2_b64 v[14:17], v93 offset0:12 offset1:168
	ds_read_b64 v[44:45], v89
	ds_read2_b64 v[18:21], v68 offset0:68 offset1:224
	ds_read2_b64 v[36:39], v69 offset0:60 offset1:216
	ds_read2_b64 v[40:43], v88 offset1:156
	ds_read_b64 v[46:47], v88 offset:13728
	s_waitcnt lgkmcnt(0)
	s_barrier
	s_waitcnt vmcnt(2)
	v_pk_mul_f32 v[48:49], v[2:3], v[44:45] op_sel:[0,1]
	s_nop 0
	v_pk_fma_f32 v[50:51], v[2:3], v[44:45], v[48:49] op_sel:[0,0,1] op_sel_hi:[1,0,0]
	v_pk_fma_f32 v[44:45], v[2:3], v[44:45], v[48:49] op_sel:[0,0,1] op_sel_hi:[1,0,0] neg_lo:[1,0,0] neg_hi:[1,0,0]
	v_pk_mul_f32 v[48:49], v[4:5], v[12:13] op_sel:[0,1]
	v_mov_b32_e32 v51, v45
	v_pk_fma_f32 v[52:53], v[4:5], v[12:13], v[48:49] op_sel:[0,0,1] op_sel_hi:[1,1,0]
	v_pk_fma_f32 v[12:13], v[4:5], v[12:13], v[48:49] op_sel:[0,0,1] op_sel_hi:[1,0,0] neg_lo:[1,0,0] neg_hi:[1,0,0]
	v_mov_b32_e32 v44, v50
	v_mov_b32_e32 v53, v13
	s_waitcnt vmcnt(1)
	v_pk_mul_f32 v[12:13], v[6:7], v[16:17] op_sel:[0,1]
	s_nop 0
	v_pk_fma_f32 v[48:49], v[6:7], v[16:17], v[12:13] op_sel:[0,0,1] op_sel_hi:[1,1,0]
	v_pk_fma_f32 v[12:13], v[6:7], v[16:17], v[12:13] op_sel:[0,0,1] op_sel_hi:[1,0,0] neg_lo:[1,0,0] neg_hi:[1,0,0]
	s_nop 0
	v_mov_b32_e32 v49, v13
	v_pk_mul_f32 v[12:13], v[8:9], v[20:21] op_sel:[0,1]
	s_nop 0
	v_pk_fma_f32 v[16:17], v[8:9], v[20:21], v[12:13] op_sel:[0,0,1] op_sel_hi:[1,1,0]
	v_pk_fma_f32 v[12:13], v[8:9], v[20:21], v[12:13] op_sel:[0,0,1] op_sel_hi:[1,0,0] neg_lo:[1,0,0] neg_hi:[1,0,0]
	s_nop 0
	v_mov_b32_e32 v17, v13
	s_waitcnt vmcnt(0)
	v_pk_mul_f32 v[12:13], v[22:23], v[38:39] op_sel:[0,1]
	s_nop 0
	v_pk_fma_f32 v[20:21], v[22:23], v[38:39], v[12:13] op_sel:[0,0,1] op_sel_hi:[1,1,0]
	v_pk_fma_f32 v[12:13], v[22:23], v[38:39], v[12:13] op_sel:[0,0,1] op_sel_hi:[1,0,0] neg_lo:[1,0,0] neg_hi:[1,0,0]
	s_nop 0
	v_mov_b32_e32 v21, v13
	v_pk_add_f32 v[38:39], v[48:49], v[20:21]
	v_pk_add_f32 v[12:13], v[40:41], v[52:53]
	v_fmac_f32_e32 v44, -0.5, v38
	v_pk_add_f32 v[54:55], v[48:49], v[20:21] neg_lo:[0,1] neg_hi:[0,1]
	v_pk_add_f32 v[48:49], v[50:51], v[48:49]
	v_fmac_f32_e32 v45, -0.5, v39
	v_pk_add_f32 v[12:13], v[12:13], v[16:17]
	v_fmamk_f32 v38, v55, 0xbf5db3d7, v44
	v_fmac_f32_e32 v44, 0x3f5db3d7, v55
	v_pk_add_f32 v[20:21], v[48:49], v[20:21]
	v_fmamk_f32 v48, v54, 0x3f5db3d7, v45
	v_fmac_f32_e32 v45, 0xbf5db3d7, v54
	v_pk_add_f32 v[54:55], v[52:53], v[16:17]
	v_pk_add_f32 v[16:17], v[52:53], v[16:17] neg_lo:[0,1] neg_hi:[0,1]
	v_pk_fma_f32 v[40:41], v[54:55], 0.5, v[40:41] op_sel_hi:[1,0,1] neg_lo:[1,0,0] neg_hi:[1,0,0]
	v_pk_mul_f32 v[16:17], v[16:17], s[4:5] op_sel_hi:[1,0]
	s_mov_b32 s5, s14
	v_pk_mul_f32 v[48:49], v[48:49], s[4:5] op_sel_hi:[0,1]
	v_pk_add_f32 v[52:53], v[40:41], v[16:17] op_sel:[0,1] op_sel_hi:[1,0] neg_lo:[0,1] neg_hi:[0,1]
	v_pk_add_f32 v[16:17], v[40:41], v[16:17] op_sel:[0,1] op_sel_hi:[1,0]
	v_pk_fma_f32 v[54:55], v[38:39], s[14:15], v[48:49] neg_lo:[0,0,1] neg_hi:[0,0,1]
	v_pk_fma_f32 v[38:39], v[38:39], s[14:15], v[48:49] op_sel_hi:[0,1,1]
	v_mov_b32_e32 v48, v45
	v_mov_b32_e32 v40, v52
	;; [unrolled: 1-line block ×4, first 2 shown]
	v_pk_mul_f32 v[48:49], v[48:49], s[4:5] op_sel_hi:[0,1]
	v_pk_add_f32 v[50:51], v[12:13], v[20:21]
	v_pk_add_f32 v[38:39], v[40:41], v[54:55]
	v_pk_fma_f32 v[44:45], v[44:45], s[10:11], v[48:49] op_sel_hi:[0,1,1] neg_lo:[0,0,1] neg_hi:[0,0,1]
	v_mov_b32_e32 v17, v53
	v_pk_add_f32 v[12:13], v[12:13], v[20:21] neg_lo:[0,1] neg_hi:[0,1]
	v_pk_add_f32 v[20:21], v[40:41], v[54:55] neg_lo:[0,1] neg_hi:[0,1]
	v_pk_mul_f32 v[40:41], v[10:11], v[2:3] op_sel:[0,1]
	v_pk_add_f32 v[48:49], v[16:17], v[44:45]
	v_pk_add_f32 v[16:17], v[16:17], v[44:45] neg_lo:[0,1] neg_hi:[0,1]
	v_pk_fma_f32 v[44:45], v[10:11], v[2:3], v[40:41] op_sel:[0,0,1] op_sel_hi:[1,0,0]
	v_pk_fma_f32 v[2:3], v[10:11], v[2:3], v[40:41] op_sel:[0,0,1] op_sel_hi:[1,0,0] neg_lo:[0,0,1] neg_hi:[0,0,1]
	ds_write2_b64 v88, v[50:51], v[38:39] offset1:156
	ds_write2_b64 v92, v[48:49], v[12:13] offset0:56 offset1:212
	ds_write2_b64 v0, v[20:21], v[16:17] offset0:48 offset1:204
	v_mov_b32_e32 v2, v5
	v_pk_mul_f32 v[10:11], v[14:15], v[2:3] op_sel_hi:[1,0]
	v_mov_b32_e32 v2, v9
	v_pk_fma_f32 v[40:41], v[14:15], v[4:5], v[10:11] op_sel:[0,0,1] op_sel_hi:[1,1,0]
	v_pk_fma_f32 v[4:5], v[14:15], v[4:5], v[10:11] op_sel:[0,0,1] op_sel_hi:[1,0,0] neg_lo:[0,0,1] neg_hi:[0,0,1]
	v_mov_b32_e32 v45, v3
	v_mov_b32_e32 v41, v5
	v_pk_mul_f32 v[4:5], v[18:19], v[6:7] op_sel:[0,1]
	s_nop 0
	v_pk_fma_f32 v[10:11], v[18:19], v[6:7], v[4:5] op_sel:[0,0,1] op_sel_hi:[1,1,0]
	v_pk_fma_f32 v[4:5], v[18:19], v[6:7], v[4:5] op_sel:[0,0,1] op_sel_hi:[1,0,0] neg_lo:[0,0,1] neg_hi:[0,0,1]
	s_nop 0
	v_mov_b32_e32 v11, v5
	v_pk_mul_f32 v[4:5], v[36:37], v[2:3] op_sel_hi:[1,0]
	v_mov_b32_e32 v2, v44
	v_pk_fma_f32 v[6:7], v[36:37], v[8:9], v[4:5] op_sel:[0,0,1] op_sel_hi:[1,1,0]
	v_pk_fma_f32 v[4:5], v[36:37], v[8:9], v[4:5] op_sel:[0,0,1] op_sel_hi:[1,0,0] neg_lo:[0,0,1] neg_hi:[0,0,1]
	s_nop 0
	v_mov_b32_e32 v7, v5
	v_pk_mul_f32 v[4:5], v[46:47], v[22:23] op_sel:[0,1]
	v_pk_add_f32 v[12:13], v[40:41], v[6:7]
	v_pk_fma_f32 v[8:9], v[46:47], v[22:23], v[4:5] op_sel:[0,0,1] op_sel_hi:[1,1,0]
	v_pk_fma_f32 v[4:5], v[46:47], v[22:23], v[4:5] op_sel:[0,0,1] op_sel_hi:[1,0,0] neg_lo:[0,0,1] neg_hi:[0,0,1]
	v_pk_fma_f32 v[12:13], v[12:13], 0.5, v[42:43] op_sel_hi:[1,0,1] neg_lo:[1,0,0] neg_hi:[1,0,0]
	v_mov_b32_e32 v9, v5
	v_pk_add_f32 v[14:15], v[10:11], v[8:9]
	v_pk_add_f32 v[4:5], v[42:43], v[40:41]
	v_pk_add_f32 v[18:19], v[10:11], v[8:9] neg_lo:[0,1] neg_hi:[0,1]
	v_pk_add_f32 v[10:11], v[44:45], v[10:11]
	v_fmac_f32_e32 v3, -0.5, v15
	v_pk_add_f32 v[4:5], v[4:5], v[6:7]
	v_fmac_f32_e32 v2, -0.5, v14
	v_pk_add_f32 v[8:9], v[10:11], v[8:9]
	v_fmamk_f32 v10, v18, 0x3f5db3d7, v3
	v_pk_add_f32 v[6:7], v[40:41], v[6:7] neg_lo:[0,1] neg_hi:[0,1]
	v_fmamk_f32 v14, v19, 0xbf5db3d7, v2
	v_pk_mul_f32 v[6:7], v[6:7], s[4:5] op_sel_hi:[1,0]
	v_pk_mul_f32 v[10:11], v[10:11], s[4:5] op_sel_hi:[0,1]
	v_pk_add_f32 v[16:17], v[12:13], v[6:7] op_sel:[0,1] op_sel_hi:[1,0] neg_lo:[0,1] neg_hi:[0,1]
	v_pk_add_f32 v[6:7], v[12:13], v[6:7] op_sel:[0,1] op_sel_hi:[1,0]
	v_pk_fma_f32 v[20:21], v[14:15], s[14:15], v[10:11] neg_lo:[0,0,1] neg_hi:[0,0,1]
	v_pk_fma_f32 v[10:11], v[14:15], s[14:15], v[10:11] op_sel_hi:[0,1,1]
	v_mov_b32_e32 v12, v16
	v_mov_b32_e32 v13, v7
	;; [unrolled: 1-line block ×3, first 2 shown]
	v_fmac_f32_e32 v2, 0x3f5db3d7, v19
	v_fmac_f32_e32 v3, 0xbf5db3d7, v18
	v_pk_add_f32 v[18:19], v[4:5], v[8:9]
	v_pk_add_f32 v[10:11], v[12:13], v[20:21]
	ds_write2_b64 v1, v[18:19], v[10:11] offset0:40 offset1:196
	v_mov_b32_e32 v10, v3
	v_pk_mul_f32 v[10:11], v[10:11], s[4:5] op_sel_hi:[0,1]
	v_pk_fma_f32 v[2:3], v[2:3], s[10:11], v[10:11] op_sel_hi:[0,1,1] neg_lo:[0,0,1] neg_hi:[0,0,1]
	v_mov_b32_e32 v7, v17
	v_pk_add_f32 v[10:11], v[6:7], v[2:3]
	v_pk_add_f32 v[4:5], v[4:5], v[8:9] neg_lo:[0,1] neg_hi:[0,1]
	ds_write2_b64 v91, v[10:11], v[4:5] offset0:96 offset1:252
	v_pk_add_f32 v[4:5], v[12:13], v[20:21] neg_lo:[0,1] neg_hi:[0,1]
	v_pk_add_f32 v[2:3], v[6:7], v[2:3] neg_lo:[0,1] neg_hi:[0,1]
	ds_write2_b64 v59, v[4:5], v[2:3] offset0:24 offset1:180
	v_lshl_add_u64 v[2:3], v[30:31], 3, s[8:9]
	v_add_co_u32_e32 v2, vcc, s13, v2
	s_waitcnt lgkmcnt(0)
	s_nop 0
	v_addc_co_u32_e32 v3, vcc, 0, v3, vcc
	s_barrier
	global_load_dwordx2 v[18:19], v[2:3], off offset:3288
	v_lshl_add_u64 v[2:3], v[28:29], 3, s[8:9]
	v_add_co_u32_e32 v4, vcc, s12, v2
	s_movk_i32 s4, 0x3000
	s_nop 0
	v_addc_co_u32_e32 v5, vcc, 0, v3, vcc
	global_load_dwordx2 v[20:21], v[4:5], off offset:440
	v_lshl_add_u64 v[4:5], v[34:35], 3, s[8:9]
	v_add_co_u32_e32 v4, vcc, s13, v4
	s_nop 1
	v_addc_co_u32_e32 v5, vcc, 0, v5, vcc
	global_load_dwordx2 v[22:23], v[4:5], off offset:3288
	v_lshl_add_u64 v[4:5], v[32:33], 3, s[8:9]
	v_add_co_u32_e32 v4, vcc, s13, v4
	s_nop 1
	v_addc_co_u32_e32 v5, vcc, 0, v5, vcc
	global_load_dwordx2 v[30:31], v[4:5], off offset:3288
	v_add_co_u32_e32 v2, vcc, s4, v2
	s_nop 1
	v_addc_co_u32_e32 v3, vcc, 0, v3, vcc
	global_load_dwordx2 v[32:33], v[2:3], off offset:88
	global_load_dwordx2 v[34:35], v[2:3], off offset:1336
	ds_read2_b64 v[2:5], v1 offset0:40 offset1:196
	ds_read2_b64 v[6:9], v91 offset0:96 offset1:252
	;; [unrolled: 1-line block ×3, first 2 shown]
	ds_read2_b64 v[14:17], v88 offset1:156
	s_waitcnt vmcnt(5) lgkmcnt(3)
	v_pk_mul_f32 v[36:37], v[18:19], v[2:3] op_sel:[0,1]
	s_nop 0
	v_pk_fma_f32 v[38:39], v[18:19], v[2:3], v[36:37] op_sel:[0,0,1] op_sel_hi:[1,1,0]
	v_pk_fma_f32 v[2:3], v[18:19], v[2:3], v[36:37] op_sel:[0,0,1] op_sel_hi:[1,0,0] neg_lo:[1,0,0] neg_hi:[1,0,0]
	s_nop 0
	v_mov_b32_e32 v39, v3
	s_waitcnt lgkmcnt(0)
	v_pk_add_f32 v[18:19], v[14:15], v[38:39] neg_lo:[0,1] neg_hi:[0,1]
	s_waitcnt vmcnt(4)
	v_pk_mul_f32 v[2:3], v[20:21], v[4:5] op_sel:[0,1]
	s_nop 0
	v_pk_fma_f32 v[36:37], v[20:21], v[4:5], v[2:3] op_sel:[0,0,1] op_sel_hi:[1,1,0]
	v_pk_fma_f32 v[2:3], v[20:21], v[4:5], v[2:3] op_sel:[0,0,1] op_sel_hi:[1,0,0] neg_lo:[1,0,0] neg_hi:[1,0,0]
	ds_read_b64 v[4:5], v89
	v_mov_b32_e32 v37, v3
	v_pk_add_f32 v[20:21], v[16:17], v[36:37] neg_lo:[0,1] neg_hi:[0,1]
	v_pk_fma_f32 v[14:15], v[14:15], 2.0, v[18:19] op_sel_hi:[1,0,1] neg_lo:[0,0,1] neg_hi:[0,0,1]
	s_waitcnt vmcnt(3)
	v_pk_mul_f32 v[2:3], v[22:23], v[6:7] op_sel:[0,1]
	v_pk_fma_f32 v[16:17], v[16:17], 2.0, v[20:21] op_sel_hi:[1,0,1] neg_lo:[0,0,1] neg_hi:[0,0,1]
	v_pk_fma_f32 v[36:37], v[22:23], v[6:7], v[2:3] op_sel:[0,0,1] op_sel_hi:[1,1,0]
	v_pk_fma_f32 v[2:3], v[22:23], v[6:7], v[2:3] op_sel:[0,0,1] op_sel_hi:[1,0,0] neg_lo:[1,0,0] neg_hi:[1,0,0]
	s_nop 0
	v_mov_b32_e32 v37, v3
	ds_read_b64 v[2:3], v90
	s_waitcnt lgkmcnt(1)
	v_pk_add_f32 v[6:7], v[4:5], v[36:37] neg_lo:[0,1] neg_hi:[0,1]
	s_nop 0
	v_pk_fma_f32 v[22:23], v[4:5], 2.0, v[6:7] op_sel_hi:[1,0,1] neg_lo:[0,0,1] neg_hi:[0,0,1]
	s_waitcnt vmcnt(2)
	v_pk_mul_f32 v[4:5], v[30:31], v[8:9] op_sel:[0,1]
	s_nop 0
	v_pk_fma_f32 v[36:37], v[30:31], v[8:9], v[4:5] op_sel:[0,0,1] op_sel_hi:[1,1,0]
	v_pk_fma_f32 v[4:5], v[30:31], v[8:9], v[4:5] op_sel:[0,0,1] op_sel_hi:[1,0,0] neg_lo:[1,0,0] neg_hi:[1,0,0]
	s_nop 0
	v_mov_b32_e32 v37, v5
	s_waitcnt lgkmcnt(0)
	v_pk_add_f32 v[8:9], v[2:3], v[36:37] neg_lo:[0,1] neg_hi:[0,1]
	s_waitcnt vmcnt(1)
	v_pk_mul_f32 v[36:37], v[32:33], v[10:11] op_sel:[0,1]
	v_pk_fma_f32 v[30:31], v[2:3], 2.0, v[8:9] op_sel_hi:[1,0,1] neg_lo:[0,0,1] neg_hi:[0,0,1]
	ds_read2_b64 v[2:5], v0 offset0:48 offset1:204
	v_pk_fma_f32 v[38:39], v[32:33], v[10:11], v[36:37] op_sel:[0,0,1] op_sel_hi:[1,1,0]
	v_pk_fma_f32 v[10:11], v[32:33], v[10:11], v[36:37] op_sel:[0,0,1] op_sel_hi:[1,0,0] neg_lo:[1,0,0] neg_hi:[1,0,0]
	s_waitcnt vmcnt(0)
	v_pk_mul_f32 v[32:33], v[12:13], v[34:35] op_sel:[0,1]
	v_mov_b32_e32 v39, v11
	v_pk_fma_f32 v[36:37], v[12:13], v[34:35], v[32:33] op_sel:[0,0,1] op_sel_hi:[1,1,0]
	v_pk_fma_f32 v[12:13], v[12:13], v[34:35], v[32:33] op_sel:[0,0,1] op_sel_hi:[1,0,0] neg_lo:[0,0,1] neg_hi:[0,0,1]
	s_waitcnt lgkmcnt(0)
	v_pk_add_f32 v[10:11], v[2:3], v[38:39] neg_lo:[0,1] neg_hi:[0,1]
	v_mov_b32_e32 v37, v13
	v_pk_add_f32 v[12:13], v[4:5], v[36:37] neg_lo:[0,1] neg_hi:[0,1]
	v_pk_fma_f32 v[2:3], v[2:3], 2.0, v[10:11] op_sel_hi:[1,0,1] neg_lo:[0,0,1] neg_hi:[0,0,1]
	v_pk_fma_f32 v[4:5], v[4:5], 2.0, v[12:13] op_sel_hi:[1,0,1] neg_lo:[0,0,1] neg_hi:[0,0,1]
	s_barrier
	ds_write2_b64 v88, v[14:15], v[16:17] offset1:156
	ds_write2_b64 v1, v[18:19], v[20:21] offset0:40 offset1:196
	ds_write_b64 v89, v[22:23]
	ds_write_b64 v89, v[6:7] offset:7488
	ds_write_b64 v90, v[30:31]
	ds_write_b64 v90, v[8:9] offset:7488
	ds_write2_b64 v0, v[2:3], v[4:5] offset0:48 offset1:204
	ds_write2_b64 v59, v[10:11], v[12:13] offset0:24 offset1:180
	s_waitcnt lgkmcnt(0)
	s_barrier
	s_and_saveexec_b64 s[4:5], s[0:1]
	s_cbranch_execz .LBB0_23
; %bb.22:
	v_mul_lo_u32 v0, s3, v26
	v_mul_lo_u32 v1, s2, v27
	v_mad_u64_u32 v[4:5], s[0:1], s2, v26, 0
	v_lshl_add_u32 v10, v28, 3, 0
	v_add3_u32 v5, v5, v1, v0
	ds_read2_b64 v[0:3], v10 offset1:156
	v_lshl_add_u64 v[4:5], v[4:5], 3, s[6:7]
	v_mov_b32_e32 v29, 0
	v_lshl_add_u64 v[8:9], v[24:25], 3, v[4:5]
	v_lshl_add_u64 v[4:5], v[28:29], 3, v[8:9]
	s_waitcnt lgkmcnt(0)
	global_store_dwordx2 v[4:5], v[0:1], off
	v_add_u32_e32 v4, 0x800, v10
	ds_read2_b64 v[4:7], v4 offset0:56 offset1:212
	v_add_u32_e32 v0, 0x9c, v28
	v_mov_b32_e32 v1, v29
	v_lshl_add_u64 v[0:1], v[0:1], 3, v[8:9]
	global_store_dwordx2 v[0:1], v[2:3], off
	v_add_u32_e32 v0, 0x138, v28
	v_mov_b32_e32 v1, v29
	v_lshl_add_u64 v[0:1], v[0:1], 3, v[8:9]
	s_waitcnt lgkmcnt(0)
	global_store_dwordx2 v[0:1], v[4:5], off
	v_add_u32_e32 v0, 0x1d4, v28
	v_mov_b32_e32 v1, v29
	v_lshl_add_u64 v[4:5], v[0:1], 3, v[8:9]
	v_add_u32_e32 v0, 0x1200, v10
	ds_read2_b64 v[0:3], v0 offset0:48 offset1:204
	global_store_dwordx2 v[4:5], v[6:7], off
	v_add_u32_e32 v4, 0x270, v28
	v_mov_b32_e32 v5, v29
	v_lshl_add_u64 v[4:5], v[4:5], 3, v[8:9]
	s_waitcnt lgkmcnt(0)
	global_store_dwordx2 v[4:5], v[0:1], off
	v_add_u32_e32 v4, 0x1c00, v10
	ds_read2_b64 v[4:7], v4 offset0:40 offset1:196
	v_add_u32_e32 v0, 0x30c, v28
	v_mov_b32_e32 v1, v29
	v_lshl_add_u64 v[0:1], v[0:1], 3, v[8:9]
	global_store_dwordx2 v[0:1], v[2:3], off
	v_add_u32_e32 v0, 0x3a8, v28
	v_mov_b32_e32 v1, v29
	v_lshl_add_u64 v[0:1], v[0:1], 3, v[8:9]
	s_waitcnt lgkmcnt(0)
	global_store_dwordx2 v[0:1], v[4:5], off
	v_add_u32_e32 v0, 0x444, v28
	v_mov_b32_e32 v1, v29
	v_lshl_add_u64 v[4:5], v[0:1], 3, v[8:9]
	v_add_u32_e32 v0, 0x2400, v10
	ds_read2_b64 v[0:3], v0 offset0:96 offset1:252
	global_store_dwordx2 v[4:5], v[6:7], off
	v_add_u32_e32 v4, 0x4e0, v28
	v_mov_b32_e32 v5, v29
	v_lshl_add_u64 v[4:5], v[4:5], 3, v[8:9]
	s_waitcnt lgkmcnt(0)
	global_store_dwordx2 v[4:5], v[0:1], off
	v_add_u32_e32 v4, 0x3000, v10
	ds_read2_b64 v[4:7], v4 offset0:24 offset1:180
	v_add_u32_e32 v0, 0x57c, v28
	v_mov_b32_e32 v1, v29
	v_lshl_add_u64 v[0:1], v[0:1], 3, v[8:9]
	global_store_dwordx2 v[0:1], v[2:3], off
	v_add_u32_e32 v0, 0x618, v28
	v_mov_b32_e32 v1, v29
	v_lshl_add_u64 v[0:1], v[0:1], 3, v[8:9]
	v_add_u32_e32 v28, 0x6b4, v28
	s_waitcnt lgkmcnt(0)
	global_store_dwordx2 v[0:1], v[4:5], off
	v_lshl_add_u64 v[0:1], v[28:29], 3, v[8:9]
	global_store_dwordx2 v[0:1], v[6:7], off
.LBB0_23:
	s_endpgm
	.section	.rodata,"a",@progbits
	.p2align	6, 0x0
	.amdhsa_kernel fft_rtc_back_len1872_factors_13_3_4_6_2_wgs_156_tpt_156_halfLds_sp_op_CI_CI_unitstride_sbrr_C2R_dirReg
		.amdhsa_group_segment_fixed_size 0
		.amdhsa_private_segment_fixed_size 0
		.amdhsa_kernarg_size 104
		.amdhsa_user_sgpr_count 2
		.amdhsa_user_sgpr_dispatch_ptr 0
		.amdhsa_user_sgpr_queue_ptr 0
		.amdhsa_user_sgpr_kernarg_segment_ptr 1
		.amdhsa_user_sgpr_dispatch_id 0
		.amdhsa_user_sgpr_kernarg_preload_length 0
		.amdhsa_user_sgpr_kernarg_preload_offset 0
		.amdhsa_user_sgpr_private_segment_size 0
		.amdhsa_uses_dynamic_stack 0
		.amdhsa_enable_private_segment 0
		.amdhsa_system_sgpr_workgroup_id_x 1
		.amdhsa_system_sgpr_workgroup_id_y 0
		.amdhsa_system_sgpr_workgroup_id_z 0
		.amdhsa_system_sgpr_workgroup_info 0
		.amdhsa_system_vgpr_workitem_id 0
		.amdhsa_next_free_vgpr 170
		.amdhsa_next_free_sgpr 42
		.amdhsa_accum_offset 172
		.amdhsa_reserve_vcc 1
		.amdhsa_float_round_mode_32 0
		.amdhsa_float_round_mode_16_64 0
		.amdhsa_float_denorm_mode_32 3
		.amdhsa_float_denorm_mode_16_64 3
		.amdhsa_dx10_clamp 1
		.amdhsa_ieee_mode 1
		.amdhsa_fp16_overflow 0
		.amdhsa_tg_split 0
		.amdhsa_exception_fp_ieee_invalid_op 0
		.amdhsa_exception_fp_denorm_src 0
		.amdhsa_exception_fp_ieee_div_zero 0
		.amdhsa_exception_fp_ieee_overflow 0
		.amdhsa_exception_fp_ieee_underflow 0
		.amdhsa_exception_fp_ieee_inexact 0
		.amdhsa_exception_int_div_zero 0
	.end_amdhsa_kernel
	.text
.Lfunc_end0:
	.size	fft_rtc_back_len1872_factors_13_3_4_6_2_wgs_156_tpt_156_halfLds_sp_op_CI_CI_unitstride_sbrr_C2R_dirReg, .Lfunc_end0-fft_rtc_back_len1872_factors_13_3_4_6_2_wgs_156_tpt_156_halfLds_sp_op_CI_CI_unitstride_sbrr_C2R_dirReg
                                        ; -- End function
	.section	.AMDGPU.csdata,"",@progbits
; Kernel info:
; codeLenInByte = 9280
; NumSgprs: 48
; NumVgprs: 170
; NumAgprs: 0
; TotalNumVgprs: 170
; ScratchSize: 0
; MemoryBound: 0
; FloatMode: 240
; IeeeMode: 1
; LDSByteSize: 0 bytes/workgroup (compile time only)
; SGPRBlocks: 5
; VGPRBlocks: 21
; NumSGPRsForWavesPerEU: 48
; NumVGPRsForWavesPerEU: 170
; AccumOffset: 172
; Occupancy: 2
; WaveLimiterHint : 1
; COMPUTE_PGM_RSRC2:SCRATCH_EN: 0
; COMPUTE_PGM_RSRC2:USER_SGPR: 2
; COMPUTE_PGM_RSRC2:TRAP_HANDLER: 0
; COMPUTE_PGM_RSRC2:TGID_X_EN: 1
; COMPUTE_PGM_RSRC2:TGID_Y_EN: 0
; COMPUTE_PGM_RSRC2:TGID_Z_EN: 0
; COMPUTE_PGM_RSRC2:TIDIG_COMP_CNT: 0
; COMPUTE_PGM_RSRC3_GFX90A:ACCUM_OFFSET: 42
; COMPUTE_PGM_RSRC3_GFX90A:TG_SPLIT: 0
	.text
	.p2alignl 6, 3212836864
	.fill 256, 4, 3212836864
	.type	__hip_cuid_1f3f89ea19b48bfd,@object ; @__hip_cuid_1f3f89ea19b48bfd
	.section	.bss,"aw",@nobits
	.globl	__hip_cuid_1f3f89ea19b48bfd
__hip_cuid_1f3f89ea19b48bfd:
	.byte	0                               ; 0x0
	.size	__hip_cuid_1f3f89ea19b48bfd, 1

	.ident	"AMD clang version 19.0.0git (https://github.com/RadeonOpenCompute/llvm-project roc-6.4.0 25133 c7fe45cf4b819c5991fe208aaa96edf142730f1d)"
	.section	".note.GNU-stack","",@progbits
	.addrsig
	.addrsig_sym __hip_cuid_1f3f89ea19b48bfd
	.amdgpu_metadata
---
amdhsa.kernels:
  - .agpr_count:     0
    .args:
      - .actual_access:  read_only
        .address_space:  global
        .offset:         0
        .size:           8
        .value_kind:     global_buffer
      - .offset:         8
        .size:           8
        .value_kind:     by_value
      - .actual_access:  read_only
        .address_space:  global
        .offset:         16
        .size:           8
        .value_kind:     global_buffer
      - .actual_access:  read_only
        .address_space:  global
        .offset:         24
        .size:           8
        .value_kind:     global_buffer
      - .actual_access:  read_only
        .address_space:  global
        .offset:         32
        .size:           8
        .value_kind:     global_buffer
      - .offset:         40
        .size:           8
        .value_kind:     by_value
      - .actual_access:  read_only
        .address_space:  global
        .offset:         48
        .size:           8
        .value_kind:     global_buffer
      - .actual_access:  read_only
        .address_space:  global
        .offset:         56
        .size:           8
        .value_kind:     global_buffer
      - .offset:         64
        .size:           4
        .value_kind:     by_value
      - .actual_access:  read_only
        .address_space:  global
        .offset:         72
        .size:           8
        .value_kind:     global_buffer
      - .actual_access:  read_only
        .address_space:  global
        .offset:         80
        .size:           8
        .value_kind:     global_buffer
      - .actual_access:  read_only
        .address_space:  global
        .offset:         88
        .size:           8
        .value_kind:     global_buffer
      - .actual_access:  write_only
        .address_space:  global
        .offset:         96
        .size:           8
        .value_kind:     global_buffer
    .group_segment_fixed_size: 0
    .kernarg_segment_align: 8
    .kernarg_segment_size: 104
    .language:       OpenCL C
    .language_version:
      - 2
      - 0
    .max_flat_workgroup_size: 156
    .name:           fft_rtc_back_len1872_factors_13_3_4_6_2_wgs_156_tpt_156_halfLds_sp_op_CI_CI_unitstride_sbrr_C2R_dirReg
    .private_segment_fixed_size: 0
    .sgpr_count:     48
    .sgpr_spill_count: 0
    .symbol:         fft_rtc_back_len1872_factors_13_3_4_6_2_wgs_156_tpt_156_halfLds_sp_op_CI_CI_unitstride_sbrr_C2R_dirReg.kd
    .uniform_work_group_size: 1
    .uses_dynamic_stack: false
    .vgpr_count:     170
    .vgpr_spill_count: 0
    .wavefront_size: 64
amdhsa.target:   amdgcn-amd-amdhsa--gfx950
amdhsa.version:
  - 1
  - 2
...

	.end_amdgpu_metadata
